;; amdgpu-corpus repo=ROCm/rocFFT kind=compiled arch=gfx1030 opt=O3
	.text
	.amdgcn_target "amdgcn-amd-amdhsa--gfx1030"
	.amdhsa_code_object_version 6
	.protected	fft_rtc_fwd_len1911_factors_13_7_7_3_wgs_91_tpt_91_halfLds_sp_op_CI_CI_unitstride_sbrr_dirReg ; -- Begin function fft_rtc_fwd_len1911_factors_13_7_7_3_wgs_91_tpt_91_halfLds_sp_op_CI_CI_unitstride_sbrr_dirReg
	.globl	fft_rtc_fwd_len1911_factors_13_7_7_3_wgs_91_tpt_91_halfLds_sp_op_CI_CI_unitstride_sbrr_dirReg
	.p2align	8
	.type	fft_rtc_fwd_len1911_factors_13_7_7_3_wgs_91_tpt_91_halfLds_sp_op_CI_CI_unitstride_sbrr_dirReg,@function
fft_rtc_fwd_len1911_factors_13_7_7_3_wgs_91_tpt_91_halfLds_sp_op_CI_CI_unitstride_sbrr_dirReg: ; @fft_rtc_fwd_len1911_factors_13_7_7_3_wgs_91_tpt_91_halfLds_sp_op_CI_CI_unitstride_sbrr_dirReg
; %bb.0:
	s_clause 0x2
	s_load_dwordx4 s[12:15], s[4:5], 0x0
	s_load_dwordx4 s[8:11], s[4:5], 0x58
	;; [unrolled: 1-line block ×3, first 2 shown]
	v_mul_u32_u24_e32 v2, 0x2d1, v0
	v_mov_b32_e32 v1, 0
	v_mov_b32_e32 v56, 0
	;; [unrolled: 1-line block ×3, first 2 shown]
	v_add_nc_u32_sdwa v8, s6, v2 dst_sel:DWORD dst_unused:UNUSED_PAD src0_sel:DWORD src1_sel:WORD_1
	v_mov_b32_e32 v9, v1
	s_waitcnt lgkmcnt(0)
	v_cmp_lt_u64_e64 s0, s[14:15], 2
	s_and_b32 vcc_lo, exec_lo, s0
	s_cbranch_vccnz .LBB0_8
; %bb.1:
	s_load_dwordx2 s[0:1], s[4:5], 0x10
	v_mov_b32_e32 v56, 0
	v_mov_b32_e32 v57, 0
	s_add_u32 s2, s18, 8
	s_addc_u32 s3, s19, 0
	v_mov_b32_e32 v4, v56
	s_add_u32 s6, s16, 8
	v_mov_b32_e32 v5, v57
	s_addc_u32 s7, s17, 0
	s_mov_b64 s[22:23], 1
	s_waitcnt lgkmcnt(0)
	s_add_u32 s20, s0, 8
	s_addc_u32 s21, s1, 0
.LBB0_2:                                ; =>This Inner Loop Header: Depth=1
	s_load_dwordx2 s[24:25], s[20:21], 0x0
                                        ; implicit-def: $vgpr6_vgpr7
	s_mov_b32 s0, exec_lo
	s_waitcnt lgkmcnt(0)
	v_or_b32_e32 v2, s25, v9
	v_cmpx_ne_u64_e32 0, v[1:2]
	s_xor_b32 s1, exec_lo, s0
	s_cbranch_execz .LBB0_4
; %bb.3:                                ;   in Loop: Header=BB0_2 Depth=1
	v_cvt_f32_u32_e32 v2, s24
	v_cvt_f32_u32_e32 v3, s25
	s_sub_u32 s0, 0, s24
	s_subb_u32 s26, 0, s25
	v_fmac_f32_e32 v2, 0x4f800000, v3
	v_rcp_f32_e32 v2, v2
	v_mul_f32_e32 v2, 0x5f7ffffc, v2
	v_mul_f32_e32 v3, 0x2f800000, v2
	v_trunc_f32_e32 v3, v3
	v_fmac_f32_e32 v2, 0xcf800000, v3
	v_cvt_u32_f32_e32 v3, v3
	v_cvt_u32_f32_e32 v2, v2
	v_mul_lo_u32 v6, s0, v3
	v_mul_hi_u32 v7, s0, v2
	v_mul_lo_u32 v10, s26, v2
	v_add_nc_u32_e32 v6, v7, v6
	v_mul_lo_u32 v7, s0, v2
	v_add_nc_u32_e32 v6, v6, v10
	v_mul_hi_u32 v10, v2, v7
	v_mul_lo_u32 v11, v2, v6
	v_mul_hi_u32 v12, v2, v6
	v_mul_hi_u32 v13, v3, v7
	v_mul_lo_u32 v7, v3, v7
	v_mul_hi_u32 v14, v3, v6
	v_mul_lo_u32 v6, v3, v6
	v_add_co_u32 v10, vcc_lo, v10, v11
	v_add_co_ci_u32_e32 v11, vcc_lo, 0, v12, vcc_lo
	v_add_co_u32 v7, vcc_lo, v10, v7
	v_add_co_ci_u32_e32 v7, vcc_lo, v11, v13, vcc_lo
	v_add_co_ci_u32_e32 v10, vcc_lo, 0, v14, vcc_lo
	v_add_co_u32 v6, vcc_lo, v7, v6
	v_add_co_ci_u32_e32 v7, vcc_lo, 0, v10, vcc_lo
	v_add_co_u32 v2, vcc_lo, v2, v6
	v_add_co_ci_u32_e32 v3, vcc_lo, v3, v7, vcc_lo
	v_mul_hi_u32 v6, s0, v2
	v_mul_lo_u32 v10, s26, v2
	v_mul_lo_u32 v7, s0, v3
	v_add_nc_u32_e32 v6, v6, v7
	v_mul_lo_u32 v7, s0, v2
	v_add_nc_u32_e32 v6, v6, v10
	v_mul_hi_u32 v10, v2, v7
	v_mul_lo_u32 v11, v2, v6
	v_mul_hi_u32 v12, v2, v6
	v_mul_hi_u32 v13, v3, v7
	v_mul_lo_u32 v7, v3, v7
	v_mul_hi_u32 v14, v3, v6
	v_mul_lo_u32 v6, v3, v6
	v_add_co_u32 v10, vcc_lo, v10, v11
	v_add_co_ci_u32_e32 v11, vcc_lo, 0, v12, vcc_lo
	v_add_co_u32 v7, vcc_lo, v10, v7
	v_add_co_ci_u32_e32 v7, vcc_lo, v11, v13, vcc_lo
	v_add_co_ci_u32_e32 v10, vcc_lo, 0, v14, vcc_lo
	v_add_co_u32 v6, vcc_lo, v7, v6
	v_add_co_ci_u32_e32 v7, vcc_lo, 0, v10, vcc_lo
	v_add_co_u32 v6, vcc_lo, v2, v6
	v_add_co_ci_u32_e32 v10, vcc_lo, v3, v7, vcc_lo
	v_mul_hi_u32 v12, v8, v6
	v_mad_u64_u32 v[6:7], null, v9, v6, 0
	v_mad_u64_u32 v[2:3], null, v8, v10, 0
	;; [unrolled: 1-line block ×3, first 2 shown]
	v_add_co_u32 v2, vcc_lo, v12, v2
	v_add_co_ci_u32_e32 v3, vcc_lo, 0, v3, vcc_lo
	v_add_co_u32 v2, vcc_lo, v2, v6
	v_add_co_ci_u32_e32 v2, vcc_lo, v3, v7, vcc_lo
	v_add_co_ci_u32_e32 v3, vcc_lo, 0, v11, vcc_lo
	v_add_co_u32 v6, vcc_lo, v2, v10
	v_add_co_ci_u32_e32 v7, vcc_lo, 0, v3, vcc_lo
	v_mul_lo_u32 v10, s25, v6
	v_mad_u64_u32 v[2:3], null, s24, v6, 0
	v_mul_lo_u32 v11, s24, v7
	v_sub_co_u32 v2, vcc_lo, v8, v2
	v_add3_u32 v3, v3, v11, v10
	v_sub_nc_u32_e32 v10, v9, v3
	v_subrev_co_ci_u32_e64 v10, s0, s25, v10, vcc_lo
	v_add_co_u32 v11, s0, v6, 2
	v_add_co_ci_u32_e64 v12, s0, 0, v7, s0
	v_sub_co_u32 v13, s0, v2, s24
	v_sub_co_ci_u32_e32 v3, vcc_lo, v9, v3, vcc_lo
	v_subrev_co_ci_u32_e64 v10, s0, 0, v10, s0
	v_cmp_le_u32_e32 vcc_lo, s24, v13
	v_cmp_eq_u32_e64 s0, s25, v3
	v_cndmask_b32_e64 v13, 0, -1, vcc_lo
	v_cmp_le_u32_e32 vcc_lo, s25, v10
	v_cndmask_b32_e64 v14, 0, -1, vcc_lo
	v_cmp_le_u32_e32 vcc_lo, s24, v2
	;; [unrolled: 2-line block ×3, first 2 shown]
	v_cndmask_b32_e64 v15, 0, -1, vcc_lo
	v_cmp_eq_u32_e32 vcc_lo, s25, v10
	v_cndmask_b32_e64 v2, v15, v2, s0
	v_cndmask_b32_e32 v10, v14, v13, vcc_lo
	v_add_co_u32 v13, vcc_lo, v6, 1
	v_add_co_ci_u32_e32 v14, vcc_lo, 0, v7, vcc_lo
	v_cmp_ne_u32_e32 vcc_lo, 0, v10
	v_cndmask_b32_e32 v3, v14, v12, vcc_lo
	v_cndmask_b32_e32 v10, v13, v11, vcc_lo
	v_cmp_ne_u32_e32 vcc_lo, 0, v2
	v_cndmask_b32_e32 v7, v7, v3, vcc_lo
	v_cndmask_b32_e32 v6, v6, v10, vcc_lo
.LBB0_4:                                ;   in Loop: Header=BB0_2 Depth=1
	s_andn2_saveexec_b32 s0, s1
	s_cbranch_execz .LBB0_6
; %bb.5:                                ;   in Loop: Header=BB0_2 Depth=1
	v_cvt_f32_u32_e32 v2, s24
	s_sub_i32 s1, 0, s24
	v_rcp_iflag_f32_e32 v2, v2
	v_mul_f32_e32 v2, 0x4f7ffffe, v2
	v_cvt_u32_f32_e32 v2, v2
	v_mul_lo_u32 v3, s1, v2
	v_mul_hi_u32 v3, v2, v3
	v_add_nc_u32_e32 v2, v2, v3
	v_mul_hi_u32 v2, v8, v2
	v_mul_lo_u32 v3, v2, s24
	v_add_nc_u32_e32 v6, 1, v2
	v_sub_nc_u32_e32 v3, v8, v3
	v_subrev_nc_u32_e32 v7, s24, v3
	v_cmp_le_u32_e32 vcc_lo, s24, v3
	v_cndmask_b32_e32 v3, v3, v7, vcc_lo
	v_cndmask_b32_e32 v2, v2, v6, vcc_lo
	v_mov_b32_e32 v7, v1
	v_cmp_le_u32_e32 vcc_lo, s24, v3
	v_add_nc_u32_e32 v6, 1, v2
	v_cndmask_b32_e32 v6, v2, v6, vcc_lo
.LBB0_6:                                ;   in Loop: Header=BB0_2 Depth=1
	s_or_b32 exec_lo, exec_lo, s0
	v_mul_lo_u32 v10, v7, s24
	v_mul_lo_u32 v11, v6, s25
	s_load_dwordx2 s[0:1], s[6:7], 0x0
	v_mad_u64_u32 v[2:3], null, v6, s24, 0
	s_load_dwordx2 s[24:25], s[2:3], 0x0
	s_add_u32 s22, s22, 1
	s_addc_u32 s23, s23, 0
	s_add_u32 s2, s2, 8
	s_addc_u32 s3, s3, 0
	s_add_u32 s6, s6, 8
	v_add3_u32 v3, v3, v11, v10
	v_sub_co_u32 v2, vcc_lo, v8, v2
	s_addc_u32 s7, s7, 0
	s_add_u32 s20, s20, 8
	v_sub_co_ci_u32_e32 v3, vcc_lo, v9, v3, vcc_lo
	s_addc_u32 s21, s21, 0
	s_waitcnt lgkmcnt(0)
	v_mul_lo_u32 v8, s0, v3
	v_mul_lo_u32 v9, s1, v2
	v_mad_u64_u32 v[56:57], null, s0, v2, v[56:57]
	v_mul_lo_u32 v3, s24, v3
	v_mul_lo_u32 v10, s25, v2
	v_mad_u64_u32 v[4:5], null, s24, v2, v[4:5]
	v_cmp_ge_u64_e64 s0, s[22:23], s[14:15]
	v_add3_u32 v57, v9, v57, v8
	v_add3_u32 v5, v10, v5, v3
	s_and_b32 vcc_lo, exec_lo, s0
	s_cbranch_vccnz .LBB0_9
; %bb.7:                                ;   in Loop: Header=BB0_2 Depth=1
	v_mov_b32_e32 v9, v7
	v_mov_b32_e32 v8, v6
	s_branch .LBB0_2
.LBB0_8:
	v_mov_b32_e32 v4, v56
	v_mov_b32_e32 v6, v8
	;; [unrolled: 1-line block ×4, first 2 shown]
.LBB0_9:
	s_load_dwordx2 s[0:1], s[4:5], 0x28
	v_mul_hi_u32 v2, 0x2d02d03, v0
	s_lshl_b64 s[4:5], s[14:15], 3
                                        ; implicit-def: $sgpr6
                                        ; implicit-def: $vgpr70
	s_add_u32 s2, s18, s4
	s_addc_u32 s3, s19, s5
	s_waitcnt lgkmcnt(0)
	v_cmp_gt_u64_e32 vcc_lo, s[0:1], v[6:7]
	v_cmp_le_u64_e64 s0, s[0:1], v[6:7]
	s_and_saveexec_b32 s1, s0
	s_xor_b32 s0, exec_lo, s1
; %bb.10:
	v_mul_u32_u24_e32 v1, 0x5b, v2
	s_mov_b32 s6, 0
                                        ; implicit-def: $vgpr2
                                        ; implicit-def: $vgpr56_vgpr57
	v_sub_nc_u32_e32 v70, v0, v1
                                        ; implicit-def: $vgpr0
; %bb.11:
	s_or_saveexec_b32 s1, s0
	s_load_dwordx2 s[2:3], s[2:3], 0x0
	v_mov_b32_e32 v11, s6
	v_mov_b32_e32 v10, s6
                                        ; implicit-def: $vgpr45
                                        ; implicit-def: $vgpr55
                                        ; implicit-def: $vgpr53
                                        ; implicit-def: $vgpr43
                                        ; implicit-def: $vgpr39
                                        ; implicit-def: $vgpr35
                                        ; implicit-def: $vgpr31
                                        ; implicit-def: $vgpr33
                                        ; implicit-def: $vgpr37
                                        ; implicit-def: $vgpr41
                                        ; implicit-def: $vgpr49
                                        ; implicit-def: $vgpr29
                                        ; implicit-def: $vgpr27
                                        ; implicit-def: $vgpr19
                                        ; implicit-def: $vgpr15
                                        ; implicit-def: $vgpr9
                                        ; implicit-def: $vgpr1
                                        ; implicit-def: $vgpr23
                                        ; implicit-def: $vgpr25
                                        ; implicit-def: $vgpr21
                                        ; implicit-def: $vgpr17
                                        ; implicit-def: $vgpr13
                                        ; implicit-def: $vgpr3
                                        ; implicit-def: $vgpr51
                                        ; implicit-def: $vgpr47
	s_xor_b32 exec_lo, exec_lo, s1
	s_cbranch_execz .LBB0_15
; %bb.12:
	s_add_u32 s4, s16, s4
	s_addc_u32 s5, s17, s5
	v_mov_b32_e32 v10, 0
	s_load_dwordx2 s[4:5], s[4:5], 0x0
	v_mov_b32_e32 v11, 0
                                        ; implicit-def: $vgpr12
                                        ; implicit-def: $vgpr16
                                        ; implicit-def: $vgpr20
                                        ; implicit-def: $vgpr24
                                        ; implicit-def: $vgpr22
                                        ; implicit-def: $vgpr14
                                        ; implicit-def: $vgpr18
                                        ; implicit-def: $vgpr26
                                        ; implicit-def: $vgpr28
	s_waitcnt lgkmcnt(0)
	v_mul_lo_u32 v1, s5, v6
	v_mul_lo_u32 v3, s4, v7
	v_mad_u64_u32 v[8:9], null, s4, v6, 0
	s_mov_b32 s4, exec_lo
	v_add3_u32 v9, v9, v3, v1
	v_mul_u32_u24_e32 v3, 0x5b, v2
	v_lshlrev_b64 v[1:2], 3, v[8:9]
	v_lshlrev_b64 v[8:9], 3, v[56:57]
	v_sub_nc_u32_e32 v70, v0, v3
	v_add_co_u32 v0, s0, s8, v1
	v_add_co_ci_u32_e64 v1, s0, s9, v2, s0
	v_lshlrev_b32_e32 v2, 3, v70
	v_add_co_u32 v0, s0, v0, v8
	v_add_co_ci_u32_e64 v1, s0, v1, v9, s0
                                        ; implicit-def: $vgpr8
	v_add_co_u32 v56, s0, v0, v2
	v_add_co_ci_u32_e64 v57, s0, 0, v1, s0
                                        ; implicit-def: $vgpr2
                                        ; implicit-def: $vgpr0
	v_add_co_u32 v64, s0, 0x800, v56
	v_add_co_ci_u32_e64 v65, s0, 0, v57, s0
	v_add_co_u32 v66, s0, 0x1000, v56
	v_add_co_ci_u32_e64 v67, s0, 0, v57, s0
	;; [unrolled: 2-line block ×6, first 2 shown]
	s_clause 0xc
	global_load_dwordx2 v[44:45], v[56:57], off
	global_load_dwordx2 v[54:55], v[56:57], off offset:1176
	global_load_dwordx2 v[52:53], v[64:65], off offset:304
	;; [unrolled: 1-line block ×12, first 2 shown]
	v_cmpx_gt_u32_e32 56, v70
; %bb.13:
	s_clause 0x7
	global_load_dwordx2 v[10:11], v[56:57], off offset:728
	global_load_dwordx2 v[28:29], v[56:57], off offset:1904
	;; [unrolled: 1-line block ×8, first 2 shown]
	v_add_co_u32 v22, s0, 0x3800, v56
	v_add_co_ci_u32_e64 v23, s0, 0, v57, s0
	s_clause 0x4
	global_load_dwordx2 v[12:13], v[58:59], off offset:1944
	global_load_dwordx2 v[16:17], v[60:61], off offset:1072
	;; [unrolled: 1-line block ×5, first 2 shown]
; %bb.14:
	s_or_b32 exec_lo, exec_lo, s4
.LBB0_15:
	s_or_b32 exec_lo, exec_lo, s1
	s_waitcnt vmcnt(0)
	v_add_f32_e32 v57, v50, v54
	v_sub_f32_e32 v58, v55, v51
	v_add_f32_e32 v59, v52, v48
	v_sub_f32_e32 v60, v53, v49
	v_add_f32_e32 v56, v44, v54
	v_mul_f32_e32 v61, 0x3f62ad3f, v57
	v_mul_f32_e32 v62, 0x3f116cb1, v57
	v_mul_f32_e32 v63, 0x3df6dbef, v57
	v_mul_f32_e32 v64, 0xbeb58ec6, v57
	v_mul_f32_e32 v65, 0xbf3f9e67, v57
	v_mul_f32_e32 v57, 0xbf788fa5, v57
	v_mul_f32_e32 v66, 0x3f116cb1, v59
	v_fmamk_f32 v71, v58, 0x3eedf032, v61
	v_fmac_f32_e32 v61, 0xbeedf032, v58
	v_mul_f32_e32 v67, 0xbeb58ec6, v59
	v_mul_f32_e32 v68, 0xbf788fa5, v59
	v_fmamk_f32 v72, v58, 0x3f52af12, v62
	v_fmac_f32_e32 v62, 0xbf52af12, v58
	v_fmamk_f32 v73, v58, 0x3f7e222b, v63
	v_fmac_f32_e32 v63, 0xbf7e222b, v58
	;; [unrolled: 2-line block ×6, first 2 shown]
	v_add_f32_e32 v71, v71, v44
	v_add_f32_e32 v61, v61, v44
	v_mul_f32_e32 v69, 0xbf3f9e67, v59
	v_fmamk_f32 v77, v60, 0x3f6f5d39, v67
	v_fmac_f32_e32 v67, 0xbf6f5d39, v60
	v_add_f32_e32 v72, v72, v44
	v_add_f32_e32 v62, v62, v44
	;; [unrolled: 1-line block ×12, first 2 shown]
	v_fmamk_f32 v66, v60, 0x3e750f2a, v68
	v_fmac_f32_e32 v68, 0xbe750f2a, v60
	v_add_f32_e32 v62, v67, v62
	v_fmamk_f32 v67, v60, 0xbf29c268, v69
	v_fmac_f32_e32 v69, 0x3f29c268, v60
	v_mul_f32_e32 v71, 0x3df6dbef, v59
	v_add_f32_e32 v63, v68, v63
	v_add_f32_e32 v68, v46, v42
	v_add_f32_e32 v61, v77, v72
	v_add_f32_e32 v66, v66, v73
	v_add_f32_e32 v64, v69, v64
	v_fmamk_f32 v69, v60, 0xbf7e222b, v71
	v_mul_f32_e32 v59, 0x3f62ad3f, v59
	v_fmac_f32_e32 v71, 0x3f7e222b, v60
	v_sub_f32_e32 v72, v43, v47
	v_mul_f32_e32 v73, 0x3df6dbef, v68
	v_add_f32_e32 v67, v67, v74
	v_fmamk_f32 v74, v60, 0xbeedf032, v59
	v_fmac_f32_e32 v59, 0x3eedf032, v60
	v_add_f32_e32 v60, v71, v65
	v_fmamk_f32 v65, v72, 0x3f7e222b, v73
	v_mul_f32_e32 v71, 0xbf788fa5, v68
	v_fmac_f32_e32 v73, 0xbf7e222b, v72
	v_add_f32_e32 v44, v59, v44
	v_add_f32_e32 v69, v69, v75
	;; [unrolled: 1-line block ×3, first 2 shown]
	v_fmamk_f32 v59, v72, 0x3e750f2a, v71
	v_mul_f32_e32 v65, 0xbeb58ec6, v68
	v_fmac_f32_e32 v71, 0xbe750f2a, v72
	v_add_f32_e32 v58, v58, v73
	v_mul_f32_e32 v73, 0x3f62ad3f, v68
	v_add_f32_e32 v59, v61, v59
	v_fmamk_f32 v61, v72, 0xbf6f5d39, v65
	v_add_f32_e32 v62, v62, v71
	v_fmac_f32_e32 v65, 0x3f6f5d39, v72
	v_fmamk_f32 v71, v72, 0xbeedf032, v73
	v_fmac_f32_e32 v73, 0x3eedf032, v72
	v_add_f32_e32 v61, v66, v61
	v_mul_f32_e32 v66, 0x3f116cb1, v68
	v_add_f32_e32 v63, v63, v65
	v_add_f32_e32 v65, v67, v71
	;; [unrolled: 1-line block ×4, first 2 shown]
	v_fmamk_f32 v71, v72, 0x3f52af12, v66
	v_mul_f32_e32 v68, 0xbf3f9e67, v68
	v_fmac_f32_e32 v66, 0xbf52af12, v72
	v_sub_f32_e32 v73, v39, v41
	v_mul_f32_e32 v75, 0xbeb58ec6, v67
	v_add_f32_e32 v69, v69, v71
	v_fmamk_f32 v71, v72, 0x3f29c268, v68
	v_add_f32_e32 v60, v60, v66
	v_fmac_f32_e32 v68, 0xbf29c268, v72
	v_fmamk_f32 v66, v73, 0x3f6f5d39, v75
	v_mul_f32_e32 v72, 0xbf3f9e67, v67
	v_add_f32_e32 v74, v74, v76
	v_fmac_f32_e32 v75, 0xbf6f5d39, v73
	v_add_f32_e32 v44, v44, v68
	v_add_f32_e32 v57, v66, v57
	v_fmamk_f32 v66, v73, 0xbf29c268, v72
	v_mul_f32_e32 v68, 0x3f62ad3f, v67
	v_add_f32_e32 v71, v74, v71
	v_fmac_f32_e32 v72, 0x3f29c268, v73
	v_mul_f32_e32 v74, 0x3df6dbef, v67
	v_add_f32_e32 v59, v66, v59
	v_fmamk_f32 v66, v73, 0xbeedf032, v68
	v_fmac_f32_e32 v68, 0x3eedf032, v73
	v_add_f32_e32 v62, v72, v62
	v_fmamk_f32 v72, v73, 0x3f7e222b, v74
	v_fmac_f32_e32 v74, 0xbf7e222b, v73
	v_add_f32_e32 v61, v66, v61
	v_mul_f32_e32 v66, 0xbf788fa5, v67
	v_add_f32_e32 v63, v68, v63
	v_add_f32_e32 v68, v34, v36
	;; [unrolled: 1-line block ×4, first 2 shown]
	v_mul_f32_e32 v67, 0x3f116cb1, v67
	v_fmamk_f32 v72, v73, 0xbe750f2a, v66
	v_add_f32_e32 v58, v75, v58
	v_add_f32_e32 v64, v74, v64
	v_fmac_f32_e32 v66, 0x3e750f2a, v73
	v_sub_f32_e32 v74, v35, v37
	v_mul_f32_e32 v75, 0xbf3f9e67, v68
	v_add_f32_e32 v56, v56, v42
	v_fmamk_f32 v76, v73, 0xbf52af12, v67
	v_add_f32_e32 v69, v72, v69
	v_fmac_f32_e32 v67, 0x3f52af12, v73
	v_mul_f32_e32 v72, 0x3df6dbef, v68
	v_add_f32_e32 v60, v66, v60
	v_fmamk_f32 v66, v74, 0x3f29c268, v75
	v_add_f32_e32 v56, v56, v38
	v_add_f32_e32 v44, v67, v44
	v_fmamk_f32 v67, v74, 0xbf7e222b, v72
	v_mul_f32_e32 v73, 0xbf788fa5, v68
	v_fmac_f32_e32 v75, 0xbf29c268, v74
	v_add_f32_e32 v57, v66, v57
	v_mul_f32_e32 v66, 0x3f116cb1, v68
	v_add_f32_e32 v56, v56, v34
	v_add_f32_e32 v59, v67, v59
	v_fmamk_f32 v67, v74, 0xbe750f2a, v73
	v_add_f32_e32 v58, v75, v58
	v_fmamk_f32 v75, v74, 0x3f52af12, v66
	v_fmac_f32_e32 v66, 0xbf52af12, v74
	v_add_f32_e32 v56, v56, v30
	v_fmac_f32_e32 v73, 0x3e750f2a, v74
	v_add_f32_e32 v65, v67, v65
	v_mul_f32_e32 v67, 0xbeb58ec6, v68
	v_fmac_f32_e32 v72, 0x3f7e222b, v74
	v_add_f32_e32 v63, v66, v63
	v_mul_f32_e32 v66, 0x3f62ad3f, v68
	v_add_f32_e32 v68, v30, v32
	v_add_f32_e32 v56, v56, v32
	;; [unrolled: 1-line block ×3, first 2 shown]
	v_fmamk_f32 v73, v74, 0x3f6f5d39, v67
	v_fmac_f32_e32 v67, 0xbf6f5d39, v74
	v_add_f32_e32 v71, v76, v71
	v_add_f32_e32 v62, v72, v62
	;; [unrolled: 1-line block ×3, first 2 shown]
	v_fmamk_f32 v72, v74, 0xbeedf032, v66
	v_fmac_f32_e32 v66, 0x3eedf032, v74
	v_sub_f32_e32 v75, v31, v33
	v_mul_f32_e32 v76, 0xbf788fa5, v68
	v_add_f32_e32 v56, v56, v36
	v_add_f32_e32 v44, v67, v44
	v_mul_f32_e32 v67, 0xbf3f9e67, v68
	v_add_f32_e32 v69, v72, v69
	v_add_f32_e32 v60, v66, v60
	;; [unrolled: 1-line block ×3, first 2 shown]
	v_fmamk_f32 v71, v75, 0x3e750f2a, v76
	v_mul_f32_e32 v72, 0x3f62ad3f, v68
	v_add_f32_e32 v56, v56, v40
	v_fmamk_f32 v73, v75, 0x3f29c268, v67
	v_fmac_f32_e32 v67, 0xbf29c268, v75
	v_add_f32_e32 v57, v71, v57
	v_fmamk_f32 v71, v75, 0xbeedf032, v72
	v_fmac_f32_e32 v72, 0x3eedf032, v75
	v_add_f32_e32 v56, v56, v46
	v_mul_f32_e32 v74, 0x3f116cb1, v68
	v_add_f32_e32 v63, v67, v63
	v_mul_f32_e32 v67, 0x3df6dbef, v68
	;; [unrolled: 2-line block ×3, first 2 shown]
	v_add_f32_e32 v56, v56, v48
	v_add_f32_e32 v59, v71, v59
	;; [unrolled: 1-line block ×3, first 2 shown]
	v_fmamk_f32 v61, v75, 0xbf52af12, v74
	v_fmamk_f32 v73, v75, 0xbf7e222b, v67
	v_fmac_f32_e32 v67, 0x3f7e222b, v75
	v_fmac_f32_e32 v74, 0x3f52af12, v75
	v_fmamk_f32 v68, v75, 0x3f6f5d39, v72
	v_fmac_f32_e32 v72, 0xbf6f5d39, v75
	v_fmac_f32_e32 v76, 0xbe750f2a, v75
	v_add_f32_e32 v56, v50, v56
	v_add_f32_e32 v65, v61, v65
	v_mad_u32_u24 v61, v70, 52, 0
	v_add_f32_e32 v66, v73, v66
	v_add_f32_e32 v44, v67, v44
	v_cmp_gt_u32_e64 s0, 56, v70
	v_add_f32_e32 v64, v74, v64
	v_add_f32_e32 v60, v72, v60
	;; [unrolled: 1-line block ×4, first 2 shown]
	ds_write2_b32 v61, v56, v57 offset1:1
	ds_write2_b32 v61, v59, v71 offset0:2 offset1:3
	ds_write2_b32 v61, v65, v68 offset0:4 offset1:5
	ds_write2_b32 v61, v66, v44 offset0:6 offset1:7
	ds_write2_b32 v61, v60, v64 offset0:8 offset1:9
	ds_write2_b32 v61, v63, v62 offset0:10 offset1:11
	ds_write_b32 v61, v58 offset:48
	s_and_saveexec_b32 s1, s0
	s_cbranch_execz .LBB0_17
; %bb.16:
	v_sub_f32_e32 v44, v29, v23
	v_add_f32_e32 v56, v28, v22
	v_sub_f32_e32 v58, v27, v25
	v_add_f32_e32 v57, v26, v24
	v_sub_f32_e32 v62, v19, v21
	v_mul_f32_e32 v60, 0xbe750f2a, v44
	v_add_f32_e32 v59, v18, v20
	v_mul_f32_e32 v65, 0x3eedf032, v58
	v_sub_f32_e32 v64, v15, v17
	v_mul_f32_e32 v69, 0xbf29c268, v62
	v_fmamk_f32 v66, v56, 0xbf788fa5, v60
	v_add_f32_e32 v63, v14, v16
	v_fmamk_f32 v71, v57, 0x3f62ad3f, v65
	v_sub_f32_e32 v68, v9, v13
	v_mul_f32_e32 v74, 0x3f52af12, v64
	v_add_f32_e32 v66, v10, v66
	v_fmamk_f32 v75, v59, 0xbf3f9e67, v69
	v_fma_f32 v60, 0xbf788fa5, v56, -v60
	v_add_f32_e32 v67, v8, v12
	v_fmamk_f32 v76, v63, 0x3f116cb1, v74
	v_add_f32_e32 v66, v66, v71
	v_mul_f32_e32 v71, 0xbf6f5d39, v68
	v_fma_f32 v65, 0x3f62ad3f, v57, -v65
	v_add_f32_e32 v60, v10, v60
	v_fma_f32 v69, 0xbf3f9e67, v59, -v69
	v_add_f32_e32 v66, v66, v75
	v_mul_f32_e32 v75, 0xbf29c268, v44
	v_fmamk_f32 v77, v67, 0xbeb58ec6, v71
	v_add_f32_e32 v60, v60, v65
	v_mul_f32_e32 v78, 0x3f7e222b, v58
	v_add_f32_e32 v66, v66, v76
	v_fmamk_f32 v76, v56, 0xbf3f9e67, v75
	v_sub_f32_e32 v73, v1, v3
	v_add_f32_e32 v60, v60, v69
	v_fma_f32 v69, 0x3f116cb1, v63, -v74
	v_add_f32_e32 v66, v66, v77
	v_add_f32_e32 v74, v10, v76
	v_fmamk_f32 v76, v57, 0x3df6dbef, v78
	v_mul_f32_e32 v77, 0xbf52af12, v62
	v_add_f32_e32 v72, v0, v2
	v_mul_f32_e32 v65, 0x3f7e222b, v73
	v_add_f32_e32 v60, v60, v69
	v_fma_f32 v69, 0xbeb58ec6, v67, -v71
	v_add_f32_e32 v71, v74, v76
	v_fmamk_f32 v74, v59, 0x3f116cb1, v77
	v_mul_f32_e32 v76, 0x3e750f2a, v64
	v_fmamk_f32 v79, v72, 0x3df6dbef, v65
	v_add_f32_e32 v60, v60, v69
	v_fma_f32 v69, 0xbf3f9e67, v56, -v75
	v_add_f32_e32 v71, v71, v74
	v_fmamk_f32 v74, v63, 0xbf788fa5, v76
	v_mul_f32_e32 v75, 0x3eedf032, v68
	v_add_f32_e32 v66, v66, v79
	v_fma_f32 v65, 0x3df6dbef, v72, -v65
	v_add_f32_e32 v69, v10, v69
	v_fma_f32 v78, 0x3df6dbef, v57, -v78
	v_add_f32_e32 v71, v71, v74
	v_fmamk_f32 v74, v67, 0x3f62ad3f, v75
	v_mul_f32_e32 v79, 0xbf6f5d39, v44
	v_add_f32_e32 v60, v60, v65
	v_add_f32_e32 v65, v69, v78
	v_fma_f32 v69, 0x3f116cb1, v59, -v77
	v_add_f32_e32 v71, v71, v74
	v_fmamk_f32 v74, v56, 0xbeb58ec6, v79
	v_mul_f32_e32 v77, 0x3f29c268, v58
	v_mul_f32_e32 v80, 0x3eedf032, v62
	v_add_f32_e32 v65, v65, v69
	v_fma_f32 v69, 0xbf788fa5, v63, -v76
	v_add_f32_e32 v74, v10, v74
	v_fmamk_f32 v76, v57, 0xbf3f9e67, v77
	v_mul_f32_e32 v78, 0xbf6f5d39, v73
	v_fma_f32 v77, 0xbf3f9e67, v57, -v77
	v_add_f32_e32 v65, v65, v69
	v_fma_f32 v69, 0x3f62ad3f, v67, -v75
	v_add_f32_e32 v74, v74, v76
	v_fmamk_f32 v75, v59, 0x3f62ad3f, v80
	v_mul_f32_e32 v76, 0xbf7e222b, v64
	v_fmamk_f32 v81, v72, 0xbeb58ec6, v78
	v_add_f32_e32 v65, v65, v69
	v_fma_f32 v69, 0xbeb58ec6, v56, -v79
	v_add_f32_e32 v74, v74, v75
	v_fmamk_f32 v75, v63, 0x3df6dbef, v76
	v_mul_f32_e32 v79, 0x3e750f2a, v68
	v_fma_f32 v78, 0xbeb58ec6, v72, -v78
	v_add_f32_e32 v69, v10, v69
	v_add_f32_e32 v71, v71, v81
	;; [unrolled: 1-line block ×3, first 2 shown]
	v_fmamk_f32 v75, v67, 0xbf788fa5, v79
	v_add_f32_e32 v65, v65, v78
	v_mul_f32_e32 v78, 0xbf7e222b, v44
	v_add_f32_e32 v69, v69, v77
	v_fma_f32 v77, 0x3f62ad3f, v59, -v80
	v_add_f32_e32 v74, v74, v75
	v_mul_f32_e32 v75, 0x3f52af12, v73
	v_fmamk_f32 v80, v56, 0x3df6dbef, v78
	v_mul_f32_e32 v81, 0xbe750f2a, v58
	v_add_f32_e32 v69, v69, v77
	v_fma_f32 v76, 0x3df6dbef, v63, -v76
	v_fmamk_f32 v77, v72, 0x3f116cb1, v75
	v_add_f32_e32 v80, v10, v80
	v_fmamk_f32 v82, v57, 0xbf788fa5, v81
	v_mul_f32_e32 v83, 0x3f6f5d39, v62
	v_add_f32_e32 v69, v69, v76
	v_fma_f32 v76, 0xbf788fa5, v67, -v79
	v_add_f32_e32 v74, v74, v77
	v_add_f32_e32 v77, v80, v82
	v_fmamk_f32 v79, v59, 0xbeb58ec6, v83
	v_mul_f32_e32 v80, 0x3eedf032, v64
	v_add_f32_e32 v69, v69, v76
	v_fma_f32 v75, 0x3f116cb1, v72, -v75
	v_fma_f32 v76, 0x3df6dbef, v56, -v78
	v_add_f32_e32 v77, v77, v79
	v_fmamk_f32 v78, v63, 0x3f62ad3f, v80
	v_mul_f32_e32 v79, 0xbf52af12, v68
	v_add_f32_e32 v69, v69, v75
	v_add_f32_e32 v75, v10, v76
	v_fma_f32 v76, 0xbf788fa5, v57, -v81
	v_add_f32_e32 v77, v77, v78
	v_fmamk_f32 v78, v67, 0x3f116cb1, v79
	v_mul_f32_e32 v81, 0xbf29c268, v73
	v_mul_f32_e32 v82, 0xbf52af12, v44
	v_add_f32_e32 v75, v75, v76
	v_fma_f32 v76, 0xbeb58ec6, v59, -v83
	v_add_f32_e32 v77, v77, v78
	v_fmamk_f32 v78, v72, 0xbf3f9e67, v81
	v_fmamk_f32 v83, v56, 0x3f116cb1, v82
	v_mul_f32_e32 v84, 0xbf6f5d39, v58
	v_add_f32_e32 v75, v75, v76
	v_fma_f32 v76, 0x3f62ad3f, v63, -v80
	v_add_f32_e32 v77, v77, v78
	v_add_f32_e32 v78, v10, v83
	v_fmamk_f32 v80, v57, 0xbeb58ec6, v84
	v_mul_f32_e32 v83, 0xbe750f2a, v62
	v_add_f32_e32 v75, v75, v76
	v_fma_f32 v76, 0x3f116cb1, v67, -v79
	v_fma_f32 v79, 0x3f116cb1, v56, -v82
	v_add_f32_e32 v78, v78, v80
	v_fmamk_f32 v80, v59, 0xbf788fa5, v83
	v_mul_f32_e32 v82, 0x3f29c268, v64
	v_add_f32_e32 v75, v75, v76
	v_add_f32_e32 v76, v10, v79
	v_fma_f32 v79, 0xbeb58ec6, v57, -v84
	v_add_f32_e32 v78, v78, v80
	v_fmamk_f32 v80, v63, 0xbf3f9e67, v82
	v_add_f32_e32 v84, v10, v28
	v_mul_f32_e32 v85, 0x3f7e222b, v68
	v_add_f32_e32 v76, v76, v79
	v_fma_f32 v79, 0xbf788fa5, v59, -v83
	v_add_f32_e32 v78, v78, v80
	v_add_f32_e32 v80, v84, v26
	v_mul_f32_e32 v44, 0xbeedf032, v44
	v_mul_f32_e32 v58, 0xbf52af12, v58
	v_add_f32_e32 v76, v76, v79
	v_fma_f32 v79, 0xbf3f9e67, v63, -v82
	v_add_f32_e32 v80, v80, v18
	v_fma_f32 v84, 0x3f62ad3f, v56, -v44
	v_fmamk_f32 v44, v56, 0x3f62ad3f, v44
	v_mul_f32_e32 v62, 0xbf7e222b, v62
	v_add_f32_e32 v76, v76, v79
	v_add_f32_e32 v79, v80, v14
	v_fma_f32 v80, 0x3df6dbef, v67, -v85
	v_add_f32_e32 v56, v10, v84
	v_add_f32_e32 v10, v10, v44
	v_fmamk_f32 v44, v57, 0x3f116cb1, v58
	v_add_f32_e32 v79, v79, v8
	v_add_f32_e32 v76, v76, v80
	v_fma_f32 v80, 0x3f116cb1, v57, -v58
	v_fma_f32 v58, 0x3df6dbef, v59, -v62
	v_mul_f32_e32 v64, 0xbf6f5d39, v64
	v_add_f32_e32 v79, v79, v0
	v_add_f32_e32 v10, v10, v44
	;; [unrolled: 1-line block ×3, first 2 shown]
	v_fmamk_f32 v44, v59, 0x3df6dbef, v62
	v_mul_f32_e32 v59, 0xbf29c268, v68
	v_add_f32_e32 v57, v79, v2
	v_mul_f32_e32 v62, 0xbe750f2a, v73
	v_add_f32_e32 v56, v56, v58
	v_fma_f32 v58, 0xbeb58ec6, v63, -v64
	v_add_f32_e32 v10, v10, v44
	v_add_f32_e32 v57, v12, v57
	v_mul_f32_e32 v82, 0x3eedf032, v73
	v_fmamk_f32 v83, v67, 0x3df6dbef, v85
	v_add_f32_e32 v56, v56, v58
	v_fma_f32 v58, 0xbf3f9e67, v67, -v59
	v_add_f32_e32 v44, v16, v57
	v_fmamk_f32 v57, v63, 0xbeb58ec6, v64
	v_fma_f32 v81, 0xbf3f9e67, v72, -v81
	v_add_f32_e32 v78, v78, v83
	v_add_f32_e32 v56, v56, v58
	;; [unrolled: 1-line block ×3, first 2 shown]
	v_fma_f32 v58, 0xbf788fa5, v72, -v62
	v_add_f32_e32 v10, v10, v57
	v_fmamk_f32 v57, v67, 0xbf3f9e67, v59
	v_fma_f32 v59, 0x3f62ad3f, v72, -v82
	v_add_f32_e32 v44, v24, v44
	v_add_f32_e32 v56, v56, v58
	v_add_nc_u32_e32 v58, 0x127c, v61
	v_add_f32_e32 v10, v10, v57
	v_fmamk_f32 v57, v72, 0xbf788fa5, v62
	v_add_f32_e32 v44, v22, v44
	v_fmamk_f32 v83, v72, 0x3f62ad3f, v82
	v_add_f32_e32 v62, v75, v81
	v_add_f32_e32 v59, v76, v59
	;; [unrolled: 1-line block ×3, first 2 shown]
	ds_write2_b32 v58, v44, v56 offset1:1
	v_add_nc_u32_e32 v44, 0x1284, v61
	v_add_nc_u32_e32 v56, 0x128c, v61
	;; [unrolled: 1-line block ×4, first 2 shown]
	v_add_f32_e32 v63, v78, v83
	v_add_nc_u32_e32 v64, 0x12a4, v61
	ds_write2_b32 v44, v59, v62 offset1:1
	ds_write2_b32 v56, v69, v65 offset1:1
	;; [unrolled: 1-line block ×5, first 2 shown]
	ds_write_b32 v61, v10 offset:4780
.LBB0_17:
	s_or_b32 exec_lo, exec_lo, s1
	v_add_f32_e32 v10, v45, v55
	v_sub_f32_e32 v44, v54, v50
	v_add_f32_e32 v50, v51, v55
	v_add_f32_e32 v54, v53, v49
	v_sub_f32_e32 v48, v52, v48
	v_add_f32_e32 v10, v10, v53
	v_mul_f32_e32 v52, 0xbeedf032, v44
	v_mul_f32_e32 v53, 0xbf52af12, v44
	;; [unrolled: 1-line block ×4, first 2 shown]
	v_add_f32_e32 v10, v10, v43
	v_mul_f32_e32 v57, 0xbf29c268, v44
	v_mul_f32_e32 v44, 0xbe750f2a, v44
	;; [unrolled: 1-line block ×4, first 2 shown]
	v_add_f32_e32 v10, v10, v39
	v_fmamk_f32 v63, v50, 0x3f62ad3f, v52
	v_fma_f32 v52, 0x3f62ad3f, v50, -v52
	v_fmamk_f32 v64, v50, 0x3f116cb1, v53
	v_fma_f32 v53, 0x3f116cb1, v50, -v53
	v_add_f32_e32 v10, v10, v35
	v_mul_f32_e32 v60, 0xbe750f2a, v48
	v_mul_f32_e32 v62, 0x3f29c268, v48
	v_fmamk_f32 v65, v50, 0x3df6dbef, v55
	v_fma_f32 v55, 0x3df6dbef, v50, -v55
	v_add_f32_e32 v10, v10, v31
	v_fmamk_f32 v66, v50, 0xbeb58ec6, v56
	v_fma_f32 v56, 0xbeb58ec6, v50, -v56
	v_fmamk_f32 v67, v50, 0xbf3f9e67, v57
	v_fma_f32 v57, 0xbf3f9e67, v50, -v57
	v_add_f32_e32 v10, v10, v33
	v_fmamk_f32 v68, v50, 0xbf788fa5, v44
	v_fma_f32 v44, 0xbf788fa5, v50, -v44
	;; [unrolled: 5-line block ×3, first 2 shown]
	v_add_f32_e32 v63, v63, v45
	v_add_f32_e32 v52, v52, v45
	;; [unrolled: 1-line block ×18, first 2 shown]
	v_fmamk_f32 v51, v54, 0xbf788fa5, v60
	v_add_f32_e32 v52, v59, v53
	v_fma_f32 v53, 0xbf788fa5, v54, -v60
	v_fmamk_f32 v58, v54, 0xbf3f9e67, v62
	v_mul_f32_e32 v60, 0x3f7e222b, v48
	v_sub_f32_e32 v42, v42, v46
	v_fma_f32 v59, 0xbf3f9e67, v54, -v62
	v_add_f32_e32 v53, v53, v55
	v_add_f32_e32 v55, v58, v66
	v_mul_f32_e32 v48, 0x3eedf032, v48
	v_fma_f32 v58, 0x3df6dbef, v54, -v60
	v_add_f32_e32 v43, v47, v43
	v_mul_f32_e32 v47, 0xbf7e222b, v42
	v_add_f32_e32 v56, v59, v56
	v_fmamk_f32 v46, v54, 0x3df6dbef, v60
	v_fmamk_f32 v59, v54, 0x3f62ad3f, v48
	v_fma_f32 v48, 0x3f62ad3f, v54, -v48
	v_add_f32_e32 v54, v58, v57
	v_fmamk_f32 v57, v43, 0x3df6dbef, v47
	v_mul_f32_e32 v58, 0xbe750f2a, v42
	v_add_f32_e32 v10, v69, v64
	v_add_f32_e32 v44, v48, v44
	;; [unrolled: 1-line block ×4, first 2 shown]
	v_fmamk_f32 v48, v43, 0xbf788fa5, v58
	v_mul_f32_e32 v57, 0x3f6f5d39, v42
	v_fma_f32 v47, 0x3df6dbef, v43, -v47
	v_sub_f32_e32 v38, v38, v40
	v_add_f32_e32 v46, v46, v67
	v_add_f32_e32 v10, v10, v48
	v_fmamk_f32 v48, v43, 0xbeb58ec6, v57
	v_fma_f32 v58, 0xbf788fa5, v43, -v58
	v_add_f32_e32 v47, v50, v47
	v_mul_f32_e32 v50, 0x3eedf032, v42
	v_add_f32_e32 v39, v39, v41
	v_add_f32_e32 v48, v51, v48
	v_mul_f32_e32 v51, 0xbf52af12, v42
	v_mul_f32_e32 v42, 0xbf29c268, v42
	;; [unrolled: 1-line block ×3, first 2 shown]
	v_add_f32_e32 v49, v59, v49
	v_add_f32_e32 v52, v52, v58
	v_fmamk_f32 v40, v43, 0x3f116cb1, v51
	v_fma_f32 v51, 0x3f116cb1, v43, -v51
	v_fma_f32 v57, 0xbeb58ec6, v43, -v57
	v_fmamk_f32 v58, v43, 0x3f62ad3f, v50
	v_fma_f32 v50, 0x3f62ad3f, v43, -v50
	v_add_f32_e32 v40, v46, v40
	v_fmamk_f32 v46, v43, 0xbf3f9e67, v42
	v_fma_f32 v42, 0xbf3f9e67, v43, -v42
	v_add_f32_e32 v43, v54, v51
	v_fmamk_f32 v51, v39, 0xbeb58ec6, v41
	v_mul_f32_e32 v54, 0x3f29c268, v38
	v_add_f32_e32 v46, v49, v46
	v_add_f32_e32 v42, v44, v42
	v_mul_f32_e32 v49, 0x3eedf032, v38
	v_add_f32_e32 v44, v51, v45
	v_fmamk_f32 v45, v39, 0xbf3f9e67, v54
	v_fma_f32 v41, 0xbeb58ec6, v39, -v41
	v_sub_f32_e32 v34, v34, v36
	v_fma_f32 v51, 0xbf3f9e67, v39, -v54
	v_add_f32_e32 v35, v35, v37
	v_add_f32_e32 v10, v45, v10
	v_fmamk_f32 v45, v39, 0x3f62ad3f, v49
	v_add_f32_e32 v41, v41, v47
	v_mul_f32_e32 v47, 0xbf7e222b, v38
	v_mul_f32_e32 v37, 0xbf29c268, v34
	v_add_f32_e32 v51, v51, v52
	v_add_f32_e32 v45, v45, v48
	v_mul_f32_e32 v48, 0x3e750f2a, v38
	v_mul_f32_e32 v38, 0x3f52af12, v38
	v_fma_f32 v49, 0x3f62ad3f, v39, -v49
	v_fmamk_f32 v52, v39, 0x3df6dbef, v47
	v_fma_f32 v47, 0x3df6dbef, v39, -v47
	v_fmamk_f32 v36, v39, 0xbf788fa5, v48
	v_fma_f32 v48, 0xbf788fa5, v39, -v48
	v_add_f32_e32 v50, v56, v50
	v_sub_f32_e32 v30, v30, v32
	v_add_f32_e32 v62, v31, v33
	v_add_f32_e32 v36, v36, v40
	v_fmamk_f32 v40, v39, 0x3f116cb1, v38
	v_fma_f32 v38, 0x3f116cb1, v39, -v38
	v_add_f32_e32 v39, v48, v43
	v_fmamk_f32 v43, v35, 0xbf3f9e67, v37
	v_mul_f32_e32 v48, 0x3f7e222b, v34
	v_fma_f32 v37, 0xbf3f9e67, v35, -v37
	v_add_f32_e32 v38, v38, v42
	v_add_f32_e32 v47, v47, v50
	;; [unrolled: 1-line block ×3, first 2 shown]
	v_fmamk_f32 v43, v35, 0x3df6dbef, v48
	v_mul_f32_e32 v44, 0xbf52af12, v34
	v_add_f32_e32 v37, v37, v41
	v_mul_f32_e32 v41, 0x3e750f2a, v34
	v_add_f32_e32 v40, v40, v46
	v_add_f32_e32 v10, v43, v10
	v_fmamk_f32 v43, v35, 0x3f116cb1, v44
	v_fma_f32 v46, 0x3df6dbef, v35, -v48
	v_fmamk_f32 v48, v35, 0xbf788fa5, v41
	v_fma_f32 v41, 0xbf788fa5, v35, -v41
	v_mul_f32_e32 v31, 0xbe750f2a, v30
	v_add_f32_e32 v43, v43, v45
	v_mul_f32_e32 v45, 0x3eedf032, v34
	v_mul_f32_e32 v34, 0xbf6f5d39, v34
	v_add_f32_e32 v53, v53, v57
	v_add_f32_e32 v55, v55, v58
	;; [unrolled: 1-line block ×3, first 2 shown]
	v_fmamk_f32 v32, v35, 0x3f62ad3f, v45
	v_fma_f32 v44, 0x3f116cb1, v35, -v44
	v_add_f32_e32 v51, v41, v47
	v_fma_f32 v41, 0x3f62ad3f, v35, -v45
	v_fma_f32 v33, 0xbeb58ec6, v35, -v34
	v_add_f32_e32 v64, v32, v36
	v_fmamk_f32 v32, v35, 0xbeb58ec6, v34
	v_fmamk_f32 v34, v62, 0xbf788fa5, v31
	v_mul_f32_e32 v35, 0x3eedf032, v30
	v_fma_f32 v31, 0xbf788fa5, v62, -v31
	v_add_f32_e32 v49, v49, v53
	v_add_f32_e32 v52, v52, v55
	;; [unrolled: 1-line block ×4, first 2 shown]
	v_fmamk_f32 v32, v62, 0x3f62ad3f, v35
	v_mul_f32_e32 v33, 0xbf29c268, v30
	v_add_f32_e32 v69, v31, v37
	v_mul_f32_e32 v31, 0x3f52af12, v30
	v_mad_i32_i24 v50, 0xffffffd0, v70, v61
	v_add_f32_e32 v44, v44, v49
	v_add_f32_e32 v48, v48, v52
	v_add_f32_e32 v68, v34, v42
	v_fma_f32 v34, 0x3f62ad3f, v62, -v35
	v_add_f32_e32 v71, v32, v10
	v_fmamk_f32 v10, v62, 0xbf3f9e67, v33
	v_fma_f32 v32, 0xbf3f9e67, v62, -v33
	v_fmamk_f32 v33, v62, 0x3f116cb1, v31
	v_add_nc_u32_e32 v59, 0x1200, v50
	v_add_nc_u32_e32 v52, 0x200, v50
	;; [unrolled: 1-line block ×9, first 2 shown]
	v_add_f32_e32 v65, v41, v39
	v_add_f32_e32 v72, v34, v46
	v_mul_f32_e32 v73, 0xbf6f5d39, v30
	v_add_f32_e32 v74, v10, v43
	v_add_f32_e32 v75, v32, v44
	;; [unrolled: 1-line block ×3, first 2 shown]
	v_fma_f32 v77, 0x3f116cb1, v62, -v31
	v_mul_f32_e32 v79, 0x3f7e222b, v30
	s_waitcnt lgkmcnt(0)
	s_barrier
	buffer_gl0_inv
	ds_read2_b32 v[32:33], v50 offset1:91
	ds_read2_b32 v[30:31], v52 offset0:54 offset1:145
	ds_read2_b32 v[48:49], v53 offset0:34 offset1:125
	;; [unrolled: 1-line block ×9, first 2 shown]
	ds_read_b32 v10, v50 offset:7280
	v_fmamk_f32 v78, v62, 0xbeb58ec6, v73
	v_fma_f32 v73, 0xbeb58ec6, v62, -v73
	v_fmamk_f32 v80, v62, 0x3df6dbef, v79
	v_fma_f32 v62, 0x3df6dbef, v62, -v79
	v_add_f32_e32 v77, v77, v51
	v_add_nc_u32_e32 v51, 0x5b, v70
	v_add_f32_e32 v64, v78, v64
	v_add_f32_e32 v66, v80, v66
	;; [unrolled: 1-line block ×4, first 2 shown]
	s_waitcnt lgkmcnt(0)
	s_barrier
	buffer_gl0_inv
	ds_write2_b32 v61, v63, v68 offset1:1
	ds_write2_b32 v61, v71, v74 offset0:2 offset1:3
	ds_write2_b32 v61, v76, v64 offset0:4 offset1:5
	;; [unrolled: 1-line block ×5, first 2 shown]
	ds_write_b32 v61, v69 offset:48
	s_and_saveexec_b32 s1, s0
	s_cbranch_execz .LBB0_19
; %bb.18:
	v_add_f32_e32 v61, v11, v29
	v_sub_f32_e32 v24, v26, v24
	v_sub_f32_e32 v22, v28, v22
	v_add_f32_e32 v28, v29, v23
	v_add_f32_e32 v29, v27, v25
	;; [unrolled: 1-line block ×3, first 2 shown]
	v_mul_f32_e32 v65, 0xbf52af12, v24
	v_mul_f32_e32 v27, 0xbeedf032, v22
	;; [unrolled: 1-line block ×4, first 2 shown]
	v_add_f32_e32 v26, v26, v19
	v_mul_f32_e32 v63, 0xbf6f5d39, v22
	v_mul_f32_e32 v64, 0xbf29c268, v22
	;; [unrolled: 1-line block ×4, first 2 shown]
	v_add_f32_e32 v26, v26, v15
	v_fmamk_f32 v69, v28, 0x3f62ad3f, v27
	v_fma_f32 v27, 0x3f62ad3f, v28, -v27
	v_fmamk_f32 v71, v28, 0x3f116cb1, v61
	v_fma_f32 v61, 0x3f116cb1, v28, -v61
	v_add_f32_e32 v26, v26, v9
	v_mul_f32_e32 v67, 0xbe750f2a, v24
	v_mul_f32_e32 v68, 0x3f29c268, v24
	v_fmamk_f32 v72, v28, 0x3df6dbef, v62
	v_fma_f32 v62, 0x3df6dbef, v28, -v62
	v_add_f32_e32 v26, v26, v1
	v_fmamk_f32 v73, v28, 0xbeb58ec6, v63
	v_fma_f32 v63, 0xbeb58ec6, v28, -v63
	v_fmamk_f32 v74, v28, 0xbf3f9e67, v64
	v_fma_f32 v64, 0xbf3f9e67, v28, -v64
	v_add_f32_e32 v26, v26, v3
	v_fmamk_f32 v75, v28, 0xbf788fa5, v22
	v_fma_f32 v22, 0xbf788fa5, v28, -v22
	;; [unrolled: 5-line block ×3, first 2 shown]
	v_add_f32_e32 v69, v11, v69
	v_add_f32_e32 v27, v11, v27
	;; [unrolled: 1-line block ×17, first 2 shown]
	v_fmamk_f32 v28, v29, 0xbf788fa5, v67
	v_add_f32_e32 v61, v61, v66
	v_fma_f32 v65, 0xbf788fa5, v29, -v67
	v_fmamk_f32 v66, v29, 0xbf3f9e67, v68
	v_fma_f32 v67, 0xbf3f9e67, v29, -v68
	v_mul_f32_e32 v68, 0x3f7e222b, v24
	v_sub_f32_e32 v18, v18, v20
	v_add_f32_e32 v62, v62, v65
	v_add_f32_e32 v65, v73, v66
	v_mul_f32_e32 v24, 0x3eedf032, v24
	v_fma_f32 v66, 0x3df6dbef, v29, -v68
	v_add_f32_e32 v19, v19, v21
	v_mul_f32_e32 v21, 0xbf7e222b, v18
	v_add_f32_e32 v63, v63, v67
	v_fmamk_f32 v20, v29, 0x3df6dbef, v68
	v_fmamk_f32 v67, v29, 0x3f62ad3f, v24
	v_fma_f32 v24, 0x3f62ad3f, v29, -v24
	v_add_f32_e32 v29, v64, v66
	v_fmamk_f32 v64, v19, 0x3df6dbef, v21
	v_mul_f32_e32 v66, 0xbe750f2a, v18
	v_add_f32_e32 v23, v23, v25
	v_add_f32_e32 v25, v71, v76
	;; [unrolled: 1-line block ×4, first 2 shown]
	v_fmamk_f32 v24, v19, 0xbf788fa5, v66
	v_mul_f32_e32 v64, 0x3f6f5d39, v18
	v_add_f32_e32 v28, v72, v28
	v_fma_f32 v21, 0x3df6dbef, v19, -v21
	v_sub_f32_e32 v14, v14, v16
	v_add_f32_e32 v24, v25, v24
	v_fmamk_f32 v25, v19, 0xbeb58ec6, v64
	v_add_f32_e32 v20, v74, v20
	v_fma_f32 v66, 0xbf788fa5, v19, -v66
	v_add_f32_e32 v21, v27, v21
	v_mul_f32_e32 v27, 0x3eedf032, v18
	v_add_f32_e32 v25, v28, v25
	v_mul_f32_e32 v28, 0xbf52af12, v18
	v_mul_f32_e32 v18, 0xbf29c268, v18
	v_add_f32_e32 v15, v15, v17
	v_mul_f32_e32 v17, 0xbf6f5d39, v14
	v_add_f32_e32 v61, v61, v66
	v_fmamk_f32 v16, v19, 0x3f116cb1, v28
	v_fma_f32 v28, 0x3f116cb1, v19, -v28
	v_fma_f32 v64, 0xbeb58ec6, v19, -v64
	v_fmamk_f32 v66, v19, 0x3f62ad3f, v27
	v_fma_f32 v27, 0x3f62ad3f, v19, -v27
	v_add_f32_e32 v16, v20, v16
	v_fmamk_f32 v20, v19, 0xbf3f9e67, v18
	v_add_f32_e32 v28, v29, v28
	v_fma_f32 v18, 0xbf3f9e67, v19, -v18
	v_fmamk_f32 v19, v15, 0xbeb58ec6, v17
	v_mul_f32_e32 v29, 0x3f29c268, v14
	v_add_f32_e32 v26, v26, v67
	v_fma_f32 v17, 0xbeb58ec6, v15, -v17
	v_add_f32_e32 v11, v11, v18
	v_add_f32_e32 v18, v22, v19
	v_fmamk_f32 v19, v15, 0xbf3f9e67, v29
	v_mul_f32_e32 v22, 0x3eedf032, v14
	v_add_f32_e32 v20, v26, v20
	v_mul_f32_e32 v26, 0xbf7e222b, v14
	v_sub_f32_e32 v8, v8, v12
	v_add_f32_e32 v19, v24, v19
	v_fmamk_f32 v24, v15, 0x3f62ad3f, v22
	v_add_f32_e32 v27, v63, v27
	v_add_f32_e32 v17, v21, v17
	v_fma_f32 v21, 0xbf3f9e67, v15, -v29
	v_fmamk_f32 v29, v15, 0x3df6dbef, v26
	v_fma_f32 v26, 0x3df6dbef, v15, -v26
	v_add_f32_e32 v24, v25, v24
	v_mul_f32_e32 v25, 0x3e750f2a, v14
	v_mul_f32_e32 v12, 0x3f52af12, v14
	v_add_f32_e32 v9, v9, v13
	v_mul_f32_e32 v13, 0xbf29c268, v8
	v_fma_f32 v22, 0x3f62ad3f, v15, -v22
	v_add_f32_e32 v26, v27, v26
	v_fmamk_f32 v14, v15, 0xbf788fa5, v25
	v_fma_f32 v25, 0xbf788fa5, v15, -v25
	v_fmamk_f32 v27, v15, 0x3f116cb1, v12
	v_fma_f32 v12, 0x3f116cb1, v15, -v12
	v_fmamk_f32 v15, v9, 0xbf3f9e67, v13
	v_add_f32_e32 v62, v62, v64
	v_add_f32_e32 v14, v16, v14
	;; [unrolled: 1-line block ×5, first 2 shown]
	v_mul_f32_e32 v15, 0xbf52af12, v8
	v_add_f32_e32 v22, v62, v22
	v_add_f32_e32 v20, v20, v27
	v_mul_f32_e32 v25, 0x3f7e222b, v8
	v_fma_f32 v13, 0xbf3f9e67, v9, -v13
	v_fmamk_f32 v27, v9, 0x3f116cb1, v15
	v_fma_f32 v15, 0x3f116cb1, v9, -v15
	v_add_f32_e32 v21, v61, v21
	v_fmamk_f32 v18, v9, 0x3df6dbef, v25
	v_add_f32_e32 v13, v17, v13
	v_fma_f32 v17, 0x3df6dbef, v9, -v25
	v_mul_f32_e32 v25, 0x3e750f2a, v8
	v_add_f32_e32 v15, v22, v15
	v_mul_f32_e32 v22, 0x3eedf032, v8
	v_mul_f32_e32 v8, 0xbf6f5d39, v8
	v_sub_f32_e32 v0, v0, v2
	v_add_f32_e32 v18, v19, v18
	v_add_f32_e32 v17, v21, v17
	v_fmamk_f32 v19, v9, 0xbf788fa5, v25
	v_add_f32_e32 v21, v24, v27
	v_fma_f32 v24, 0xbf788fa5, v9, -v25
	v_fmamk_f32 v2, v9, 0x3f62ad3f, v22
	v_fma_f32 v22, 0x3f62ad3f, v9, -v22
	v_fmamk_f32 v25, v9, 0xbeb58ec6, v8
	v_add_f32_e32 v1, v1, v3
	v_mul_f32_e32 v3, 0xbe750f2a, v0
	v_fma_f32 v8, 0xbeb58ec6, v9, -v8
	v_add_f32_e32 v64, v65, v66
	v_add_f32_e32 v2, v14, v2
	;; [unrolled: 1-line block ×4, first 2 shown]
	v_fmamk_f32 v16, v1, 0xbf788fa5, v3
	v_mul_f32_e32 v20, 0x3eedf032, v0
	v_add_f32_e32 v8, v11, v8
	v_mul_f32_e32 v11, 0xbf29c268, v0
	v_fma_f32 v3, 0xbf788fa5, v1, -v3
	v_add_f32_e32 v29, v64, v29
	v_add_f32_e32 v12, v12, v16
	v_fmamk_f32 v16, v1, 0x3f62ad3f, v20
	v_fma_f32 v20, 0x3f62ad3f, v1, -v20
	v_fmamk_f32 v22, v1, 0xbf3f9e67, v11
	v_add_f32_e32 v3, v13, v3
	v_mul_f32_e32 v13, 0x3f52af12, v0
	v_add_f32_e32 v19, v29, v19
	v_add_f32_e32 v16, v18, v16
	;; [unrolled: 1-line block ×4, first 2 shown]
	v_fma_f32 v11, 0xbf3f9e67, v1, -v11
	v_fmamk_f32 v20, v1, 0x3f116cb1, v13
	v_mul_f32_e32 v21, 0xbf6f5d39, v0
	v_mul_f32_e32 v0, 0x3f7e222b, v0
	v_add_f32_e32 v24, v26, v24
	v_add_f32_e32 v11, v15, v11
	;; [unrolled: 1-line block ×3, first 2 shown]
	v_fmamk_f32 v19, v1, 0xbeb58ec6, v21
	v_fmamk_f32 v20, v1, 0x3df6dbef, v0
	v_fma_f32 v0, 0x3df6dbef, v1, -v0
	v_fma_f32 v13, 0x3f116cb1, v1, -v13
	;; [unrolled: 1-line block ×3, first 2 shown]
	v_mad_u32_u24 v21, v51, 52, 0
	v_add_f32_e32 v2, v2, v19
	v_add_f32_e32 v14, v14, v20
	;; [unrolled: 1-line block ×5, first 2 shown]
	ds_write2_b32 v21, v23, v12 offset1:1
	ds_write2_b32 v21, v16, v18 offset0:2 offset1:3
	ds_write2_b32 v21, v15, v2 offset0:4 offset1:5
	;; [unrolled: 1-line block ×5, first 2 shown]
	ds_write_b32 v21, v3 offset:48
.LBB0_19:
	s_or_b32 exec_lo, exec_lo, s1
	v_and_b32_e32 v0, 0xff, v70
	v_mov_b32_e32 v1, 6
	v_and_b32_e32 v2, 0xff, v51
	s_waitcnt lgkmcnt(0)
	s_barrier
	v_mul_lo_u16 v0, 0x4f, v0
	buffer_gl0_inv
	v_mul_lo_u16 v2, 0x4f, v2
	v_add_nc_u32_e32 v61, 0xb6, v70
	v_lshrrev_b16 v29, 10, v0
	v_lshrrev_b16 v88, 10, v2
	v_mov_b32_e32 v2, 0x4ec5
	v_mul_lo_u16 v0, v29, 13
	v_mul_u32_u24_sdwa v2, v61, v2 dst_sel:DWORD dst_unused:UNUSED_PAD src0_sel:WORD_0 src1_sel:DWORD
	v_sub_nc_u16 v87, v70, v0
	v_lshrrev_b32_e32 v90, 18, v2
	v_mul_u32_u24_sdwa v0, v87, v1 dst_sel:DWORD dst_unused:UNUSED_PAD src0_sel:BYTE_0 src1_sel:DWORD
	v_mul_lo_u16 v2, v90, 13
	v_lshlrev_b32_e32 v0, 3, v0
	v_sub_nc_u16 v91, v61, v2
	s_clause 0x2
	global_load_dwordx4 v[11:14], v0, s[12:13]
	global_load_dwordx4 v[15:18], v0, s[12:13] offset:16
	global_load_dwordx4 v[19:22], v0, s[12:13] offset:32
	v_mul_lo_u16 v0, v88, 13
	v_sub_nc_u16 v89, v51, v0
	v_mul_u32_u24_sdwa v0, v89, v1 dst_sel:DWORD dst_unused:UNUSED_PAD src0_sel:BYTE_0 src1_sel:DWORD
	v_mul_u32_u24_sdwa v1, v91, v1 dst_sel:DWORD dst_unused:UNUSED_PAD src0_sel:WORD_0 src1_sel:DWORD
	v_lshlrev_b32_e32 v0, 3, v0
	s_clause 0x2
	global_load_dwordx4 v[23:26], v0, s[12:13]
	global_load_dwordx4 v[62:65], v0, s[12:13] offset:16
	global_load_dwordx4 v[66:69], v0, s[12:13] offset:32
	v_lshlrev_b32_e32 v0, 3, v1
	s_clause 0x2
	global_load_dwordx4 v[71:74], v0, s[12:13]
	global_load_dwordx4 v[75:78], v0, s[12:13] offset:16
	global_load_dwordx4 v[79:82], v0, s[12:13] offset:32
	ds_read2_b32 v[0:1], v52 offset0:54 offset1:145
	ds_read2_b32 v[2:3], v53 offset0:34 offset1:125
	;; [unrolled: 1-line block ×6, first 2 shown]
	s_waitcnt vmcnt(8) lgkmcnt(5)
	v_mul_f32_e32 v92, v1, v12
	v_mul_f32_e32 v93, v31, v12
	;; [unrolled: 1-line block ×3, first 2 shown]
	s_waitcnt lgkmcnt(4)
	v_mul_f32_e32 v12, v2, v14
	v_fma_f32 v31, v31, v11, -v92
	v_fmac_f32_e32 v93, v1, v11
	v_fmac_f32_e32 v94, v2, v13
	s_waitcnt vmcnt(7) lgkmcnt(3)
	v_mul_f32_e32 v1, v9, v16
	v_mul_f32_e32 v92, v35, v16
	s_waitcnt lgkmcnt(2)
	v_mul_f32_e32 v2, v27, v18
	v_mul_f32_e32 v18, v46, v18
	v_fma_f32 v48, v48, v13, -v12
	v_fma_f32 v35, v35, v15, -v1
	v_fmac_f32_e32 v92, v9, v15
	v_fma_f32 v9, v46, v17, -v2
	v_fmac_f32_e32 v18, v27, v17
	s_waitcnt vmcnt(6) lgkmcnt(1)
	v_mul_f32_e32 v1, v84, v20
	v_mul_f32_e32 v17, v37, v20
	s_waitcnt lgkmcnt(0)
	v_mul_f32_e32 v2, v85, v22
	v_mul_f32_e32 v20, v44, v22
	ds_read2_b32 v[13:14], v60 offset0:48 offset1:139
	v_fma_f32 v22, v37, v19, -v1
	v_fmac_f32_e32 v17, v84, v19
	v_fma_f32 v19, v44, v21, -v2
	ds_read2_b32 v[1:2], v57 offset0:108 offset1:199
	s_waitcnt vmcnt(5)
	v_mul_f32_e32 v11, v3, v26
	v_fmac_f32_e32 v20, v85, v21
	v_mul_f32_e32 v21, v49, v26
	s_waitcnt vmcnt(4)
	v_mul_f32_e32 v44, v40, v63
	s_waitcnt vmcnt(3)
	v_mul_f32_e32 v46, v86, v69
	v_fma_f32 v26, v49, v25, -v11
	s_waitcnt vmcnt(2)
	v_mul_f32_e32 v49, v43, v72
	v_fmac_f32_e32 v21, v3, v25
	v_mov_b32_e32 v3, 0x16c
	ds_read2_b32 v[15:16], v50 offset1:91
	s_waitcnt lgkmcnt(1)
	v_mul_f32_e32 v11, v1, v24
	v_mul_f32_e32 v24, v42, v24
	v_fmac_f32_e32 v49, v2, v71
	v_fma_f32 v25, v42, v23, -v11
	v_fmac_f32_e32 v24, v1, v23
	v_mov_b32_e32 v1, 2
	ds_read2_b32 v[11:12], v56 offset0:142 offset1:233
	v_mul_u32_u24_sdwa v23, v29, v3 dst_sel:DWORD dst_unused:UNUSED_PAD src0_sel:WORD_0 src1_sel:DWORD
	v_mul_u32_u24_sdwa v3, v88, v3 dst_sel:DWORD dst_unused:UNUSED_PAD src0_sel:WORD_0 src1_sel:DWORD
	v_mul_u32_u24_e32 v29, 0x16c, v90
	v_lshlrev_b32_sdwa v27, v1, v87 dst_sel:DWORD dst_unused:UNUSED_PAD src0_sel:DWORD src1_sel:BYTE_0
	v_lshlrev_b32_sdwa v37, v1, v89 dst_sel:DWORD dst_unused:UNUSED_PAD src0_sel:DWORD src1_sel:BYTE_0
	v_lshlrev_b32_sdwa v1, v1, v91 dst_sel:DWORD dst_unused:UNUSED_PAD src0_sel:DWORD src1_sel:WORD_0
	v_add3_u32 v23, 0, v23, v27
	ds_read_b32 v27, v50 offset:7280
	v_add3_u32 v37, 0, v3, v37
	v_mul_f32_e32 v3, v47, v65
	v_add3_u32 v29, 0, v29, v1
	v_mul_f32_e32 v1, v28, v65
	s_waitcnt vmcnt(0)
	v_mul_f32_e32 v65, v14, v80
	s_waitcnt lgkmcnt(0)
	v_fmac_f32_e32 v3, v28, v64
	v_mul_f32_e32 v28, v13, v67
	v_fma_f32 v1, v47, v64, -v1
	v_mul_f32_e32 v42, v11, v63
	v_fmac_f32_e32 v44, v11, v62
	v_mul_f32_e32 v11, v38, v67
	v_mul_f32_e32 v47, v2, v72
	v_fma_f32 v28, v38, v66, -v28
	v_fma_f32 v40, v40, v62, -v42
	v_mul_f32_e32 v42, v45, v69
	v_mul_f32_e32 v62, v34, v74
	v_fmac_f32_e32 v11, v13, v66
	v_mul_f32_e32 v66, v39, v80
	v_mul_f32_e32 v67, v10, v82
	v_fma_f32 v45, v45, v68, -v46
	v_mul_f32_e32 v46, v8, v74
	v_mul_f32_e32 v64, v41, v76
	;; [unrolled: 1-line block ×3, first 2 shown]
	v_fma_f32 v43, v43, v71, -v47
	v_mul_f32_e32 v47, v27, v82
	v_fmac_f32_e32 v42, v86, v68
	v_mul_f32_e32 v63, v12, v76
	v_mul_f32_e32 v38, v36, v78
	v_fmac_f32_e32 v62, v8, v73
	v_fmac_f32_e32 v66, v14, v79
	;; [unrolled: 1-line block ×3, first 2 shown]
	v_fma_f32 v2, v34, v73, -v46
	v_fmac_f32_e32 v64, v12, v75
	v_fma_f32 v12, v36, v77, -v13
	v_fma_f32 v13, v39, v79, -v65
	v_fma_f32 v10, v10, v81, -v47
	v_fma_f32 v8, v41, v75, -v63
	v_fmac_f32_e32 v38, v83, v77
	v_add_f32_e32 v14, v31, v19
	v_add_f32_e32 v27, v93, v20
	v_sub_f32_e32 v19, v31, v19
	v_sub_f32_e32 v20, v93, v20
	v_add_f32_e32 v31, v48, v22
	v_add_f32_e32 v34, v94, v17
	v_sub_f32_e32 v22, v48, v22
	v_sub_f32_e32 v17, v94, v17
	;; [unrolled: 4-line block ×5, first 2 shown]
	v_add_f32_e32 v28, v44, v3
	v_sub_f32_e32 v3, v3, v44
	v_add_f32_e32 v44, v49, v67
	v_add_f32_e32 v47, v62, v66
	;; [unrolled: 1-line block ×3, first 2 shown]
	v_sub_f32_e32 v1, v1, v40
	v_add_f32_e32 v40, v43, v10
	v_add_f32_e32 v46, v2, v13
	v_sub_f32_e32 v10, v43, v10
	v_sub_f32_e32 v43, v49, v67
	;; [unrolled: 1-line block ×4, first 2 shown]
	v_add_f32_e32 v48, v8, v12
	v_add_f32_e32 v49, v64, v38
	v_sub_f32_e32 v8, v12, v8
	v_sub_f32_e32 v12, v38, v64
	v_add_f32_e32 v38, v31, v14
	v_add_f32_e32 v62, v34, v27
	v_sub_f32_e32 v63, v31, v14
	v_sub_f32_e32 v64, v34, v27
	;; [unrolled: 1-line block ×6, first 2 shown]
	v_add_f32_e32 v65, v9, v22
	v_add_f32_e32 v66, v18, v17
	v_sub_f32_e32 v67, v9, v22
	v_sub_f32_e32 v68, v18, v17
	;; [unrolled: 1-line block ×4, first 2 shown]
	v_add_f32_e32 v69, v42, v35
	v_add_f32_e32 v71, v45, v41
	;; [unrolled: 1-line block ×3, first 2 shown]
	v_sub_f32_e32 v77, v3, v11
	v_sub_f32_e32 v11, v11, v24
	v_add_f32_e32 v79, v47, v44
	v_add_f32_e32 v78, v46, v40
	v_sub_f32_e32 v9, v19, v9
	v_sub_f32_e32 v18, v20, v18
	;; [unrolled: 1-line block ×8, first 2 shown]
	v_add_f32_e32 v74, v1, v26
	v_sub_f32_e32 v76, v1, v26
	v_sub_f32_e32 v3, v24, v3
	;; [unrolled: 1-line block ×8, first 2 shown]
	v_add_f32_e32 v82, v8, v2
	v_sub_f32_e32 v84, v8, v2
	v_sub_f32_e32 v2, v2, v10
	v_add_f32_e32 v36, v36, v38
	v_add_f32_e32 v38, v39, v62
	;; [unrolled: 1-line block ×4, first 2 shown]
	v_mul_f32_e32 v14, 0x3f4a47b2, v14
	v_mul_f32_e32 v27, 0x3f4a47b2, v27
	;; [unrolled: 1-line block ×8, first 2 shown]
	v_add_f32_e32 v21, v21, v69
	v_add_f32_e32 v28, v28, v71
	;; [unrolled: 1-line block ×3, first 2 shown]
	v_mul_f32_e32 v75, 0xbf08b237, v77
	v_mul_f32_e32 v77, 0x3f5ff5aa, v11
	v_add_f32_e32 v49, v49, v79
	v_sub_f32_e32 v46, v48, v46
	v_add_f32_e32 v83, v12, v13
	v_sub_f32_e32 v85, v12, v13
	v_sub_f32_e32 v13, v13, v43
	v_add_f32_e32 v48, v48, v78
	v_sub_f32_e32 v1, v25, v1
	v_sub_f32_e32 v8, v10, v8
	v_add_f32_e32 v25, v74, v25
	v_mul_f32_e32 v35, 0x3f4a47b2, v35
	v_mul_f32_e32 v41, 0x3f4a47b2, v41
	;; [unrolled: 1-line block ×6, first 2 shown]
	v_add_f32_e32 v10, v82, v10
	v_mul_f32_e32 v40, 0x3f4a47b2, v40
	v_mul_f32_e32 v44, 0x3f4a47b2, v44
	;; [unrolled: 1-line block ×5, first 2 shown]
	v_add_f32_e32 v32, v32, v36
	v_add_f32_e32 v86, v15, v38
	v_fmamk_f32 v15, v31, 0x3d64c772, v14
	v_fmamk_f32 v31, v34, 0x3d64c772, v27
	v_fma_f32 v34, 0x3f3bfb3b, v63, -v39
	v_fma_f32 v39, 0x3f3bfb3b, v64, -v62
	;; [unrolled: 1-line block ×4, first 2 shown]
	v_fmamk_f32 v62, v9, 0x3eae86e6, v65
	v_fmamk_f32 v63, v18, 0x3eae86e6, v66
	v_fma_f32 v22, 0x3f5ff5aa, v22, -v65
	v_fma_f32 v17, 0x3f5ff5aa, v17, -v66
	;; [unrolled: 1-line block ×4, first 2 shown]
	v_add_f32_e32 v33, v33, v21
	v_add_f32_e32 v64, v16, v28
	v_fmamk_f32 v67, v3, 0x3eae86e6, v75
	v_fma_f32 v11, 0x3f5ff5aa, v11, -v75
	v_fma_f32 v3, 0xbeae86e6, v3, -v77
	v_add_f32_e32 v68, v0, v49
	v_sub_f32_e32 v12, v43, v12
	v_add_f32_e32 v43, v83, v43
	v_mul_f32_e32 v78, 0x3d64c772, v46
	v_mul_f32_e32 v83, 0xbf08b237, v85
	v_mul_f32_e32 v85, 0x3f5ff5aa, v13
	v_add_f32_e32 v30, v30, v48
	v_fmamk_f32 v16, v42, 0x3d64c772, v35
	v_fmamk_f32 v42, v45, 0x3d64c772, v41
	v_fma_f32 v45, 0x3f3bfb3b, v72, -v69
	v_fma_f32 v65, 0x3f3bfb3b, v73, -v71
	;; [unrolled: 1-line block ×3, first 2 shown]
	v_fmamk_f32 v66, v1, 0x3eae86e6, v74
	v_fma_f32 v26, 0x3f5ff5aa, v26, -v74
	v_fma_f32 v1, 0xbeae86e6, v1, -v76
	v_fmamk_f32 v0, v46, 0x3d64c772, v40
	v_fmamk_f32 v46, v47, 0x3d64c772, v44
	v_fma_f32 v69, 0x3f3bfb3b, v81, -v79
	v_fma_f32 v44, 0xbf3bfb3b, v81, -v44
	v_fmamk_f32 v71, v8, 0x3eae86e6, v82
	v_fma_f32 v2, 0x3f5ff5aa, v2, -v82
	v_fma_f32 v8, 0xbeae86e6, v8, -v84
	v_fmamk_f32 v36, v36, 0xbf955555, v32
	v_fmamk_f32 v38, v38, 0xbf955555, v86
	v_fmac_f32_e32 v62, 0x3ee1c552, v19
	v_fmac_f32_e32 v63, 0x3ee1c552, v20
	;; [unrolled: 1-line block ×6, first 2 shown]
	v_fmamk_f32 v19, v21, 0xbf955555, v33
	v_fmamk_f32 v20, v28, 0xbf955555, v64
	v_fmac_f32_e32 v67, 0x3ee1c552, v24
	v_fmac_f32_e32 v11, 0x3ee1c552, v24
	;; [unrolled: 1-line block ×3, first 2 shown]
	v_fmamk_f32 v24, v49, 0xbf955555, v68
	v_fma_f32 v41, 0xbf3bfb3b, v73, -v41
	v_fma_f32 v47, 0x3f3bfb3b, v80, -v78
	;; [unrolled: 1-line block ×3, first 2 shown]
	v_fmamk_f32 v72, v12, 0x3eae86e6, v83
	v_fma_f32 v13, 0x3f5ff5aa, v13, -v83
	v_fma_f32 v12, 0xbeae86e6, v12, -v85
	v_fmamk_f32 v21, v48, 0xbf955555, v30
	v_fmac_f32_e32 v66, 0x3ee1c552, v25
	v_fmac_f32_e32 v26, 0x3ee1c552, v25
	;; [unrolled: 1-line block ×6, first 2 shown]
	v_add_f32_e32 v10, v15, v36
	v_add_f32_e32 v15, v31, v38
	;; [unrolled: 1-line block ×13, first 2 shown]
	v_fmac_f32_e32 v72, 0x3ee1c552, v43
	v_fmac_f32_e32 v13, 0x3ee1c552, v43
	;; [unrolled: 1-line block ×3, first 2 shown]
	v_add_f32_e32 v36, v65, v20
	v_add_f32_e32 v20, v41, v20
	;; [unrolled: 1-line block ×6, first 2 shown]
	v_sub_f32_e32 v41, v15, v62
	v_sub_f32_e32 v43, v27, v9
	v_add_f32_e32 v49, v22, v28
	v_add_f32_e32 v9, v9, v27
	v_sub_f32_e32 v27, v31, v66
	v_add_f32_e32 v31, v66, v31
	v_sub_f32_e32 v66, v24, v8
	v_add_f32_e32 v8, v8, v24
	v_mov_b32_e32 v24, 0x6817
	v_add_f32_e32 v42, v18, v14
	v_sub_f32_e32 v44, v25, v17
	v_sub_f32_e32 v22, v28, v22
	v_add_f32_e32 v17, v17, v25
	v_sub_f32_e32 v14, v14, v18
	v_add_f32_e32 v25, v62, v15
	;; [unrolled: 2-line block ×3, first 2 shown]
	v_add_f32_e32 v18, v3, v19
	v_sub_f32_e32 v28, v20, v1
	v_sub_f32_e32 v45, v34, v11
	v_add_f32_e32 v11, v11, v34
	v_sub_f32_e32 v3, v19, v3
	v_add_f32_e32 v34, v1, v20
	;; [unrolled: 2-line block ×3, first 2 shown]
	v_add_f32_e32 v19, v12, v21
	v_sub_f32_e32 v20, v38, v13
	v_add_f32_e32 v67, v2, v39
	v_add_f32_e32 v13, v13, v38
	v_sub_f32_e32 v38, v39, v2
	v_sub_f32_e32 v2, v21, v12
	;; [unrolled: 1-line block ×3, first 2 shown]
	s_barrier
	buffer_gl0_inv
	ds_write2_b32 v23, v32, v40 offset1:13
	ds_write2_b32 v23, v42, v44 offset0:26 offset1:39
	ds_write2_b32 v23, v17, v14 offset0:52 offset1:65
	ds_write_b32 v23, v10 offset:312
	ds_write2_b32 v37, v33, v15 offset1:13
	ds_write2_b32 v37, v18, v45 offset0:26 offset1:39
	ds_write2_b32 v37, v11, v3 offset0:52 offset1:65
	ds_write_b32 v37, v1 offset:312
	;; [unrolled: 4-line block ×3, first 2 shown]
	s_waitcnt lgkmcnt(0)
	s_barrier
	buffer_gl0_inv
	ds_read2_b32 v[2:3], v50 offset1:91
	ds_read2_b32 v[0:1], v52 offset0:54 offset1:145
	ds_read2_b32 v[45:46], v53 offset0:34 offset1:125
	;; [unrolled: 1-line block ×9, first 2 shown]
	ds_read_b32 v20, v50 offset:7280
	s_waitcnt lgkmcnt(0)
	s_barrier
	buffer_gl0_inv
	ds_write2_b32 v23, v86, v41 offset1:13
	ds_write2_b32 v23, v43, v49 offset0:26 offset1:39
	ds_write2_b32 v23, v22, v9 offset0:52 offset1:65
	ds_write_b32 v23, v25 offset:312
	ds_write2_b32 v37, v64, v27 offset1:13
	v_mul_u32_u24_sdwa v9, v61, v24 dst_sel:DWORD dst_unused:UNUSED_PAD src0_sel:WORD_0 src1_sel:DWORD
	v_add_f32_e32 v65, v26, v36
	v_sub_f32_e32 v26, v36, v26
	v_add_f32_e32 v21, v71, v35
	v_sub_f32_e32 v36, v35, v71
	v_lshrrev_b32_e32 v9, 16, v9
	ds_write2_b32 v37, v28, v65 offset0:26 offset1:39
	ds_write2_b32 v37, v26, v34 offset0:52 offset1:65
	ds_write_b32 v37, v31 offset:312
	ds_write2_b32 v29, v68, v36 offset1:13
	ds_write2_b32 v29, v66, v67 offset0:26 offset1:39
	ds_write2_b32 v29, v38, v8 offset0:52 offset1:65
	ds_write_b32 v29, v21 offset:312
	v_mul_u32_u24_e32 v22, 6, v70
	s_waitcnt lgkmcnt(0)
	v_sub_nc_u16 v8, v61, v9
	s_barrier
	buffer_gl0_inv
	v_lshlrev_b32_e32 v29, 3, v22
	s_clause 0x1
	global_load_dwordx4 v[21:24], v29, s[12:13] offset:624
	global_load_dwordx4 v[25:28], v29, s[12:13] offset:640
	v_lshrrev_b16 v8, 1, v8
	global_load_dwordx4 v[29:32], v29, s[12:13] offset:656
	v_add_nc_u16 v8, v8, v9
	v_lshrrev_b16 v8, 6, v8
	v_mul_lo_u16 v8, 0x5b, v8
	v_sub_nc_u16 v8, v61, v8
	v_and_b32_e32 v49, 0xffff, v8
	v_mul_u32_u24_e32 v8, 6, v49
	v_lshl_add_u32 v49, v49, 2, 0
	v_lshlrev_b32_e32 v8, 3, v8
	s_clause 0x2
	global_load_dwordx4 v[33:36], v8, s[12:13] offset:624
	global_load_dwordx4 v[37:40], v8, s[12:13] offset:640
	;; [unrolled: 1-line block ×3, first 2 shown]
	ds_read2_b32 v[8:9], v52 offset0:54 offset1:145
	ds_read2_b32 v[64:65], v53 offset0:34 offset1:125
	;; [unrolled: 1-line block ×5, first 2 shown]
	ds_read2_b32 v[73:74], v50 offset1:91
	ds_read2_b32 v[75:76], v58 offset0:102 offset1:193
	ds_read2_b32 v[77:78], v57 offset0:108 offset1:199
	;; [unrolled: 1-line block ×4, first 2 shown]
	ds_read_b32 v83, v50 offset:7280
	s_waitcnt vmcnt(0) lgkmcnt(0)
	s_barrier
	buffer_gl0_inv
	v_mul_f32_e32 v92, v65, v24
	v_mul_f32_e32 v85, v1, v22
	;; [unrolled: 1-line block ×5, first 2 shown]
	v_fma_f32 v46, v46, v23, -v92
	v_mul_f32_e32 v92, v77, v22
	v_mul_f32_e32 v84, v9, v22
	;; [unrolled: 1-line block ×5, first 2 shown]
	v_fmac_f32_e32 v85, v9, v21
	v_fma_f32 v9, v18, v21, -v92
	v_mul_f32_e32 v18, v69, v28
	v_mul_f32_e32 v28, v48, v28
	v_mul_f32_e32 v88, v67, v26
	v_mul_f32_e32 v89, v13, v26
	v_mul_f32_e32 v93, v72, v30
	v_mul_f32_e32 v94, v11, v30
	v_fma_f32 v45, v45, v23, -v86
	v_mul_f32_e32 v86, v75, v32
	v_fmac_f32_e32 v87, v64, v23
	v_fmac_f32_e32 v24, v65, v23
	v_mul_f32_e32 v23, v62, v32
	v_fma_f32 v1, v1, v21, -v84
	v_fmac_f32_e32 v22, v77, v21
	v_mul_f32_e32 v21, v79, v26
	v_mul_f32_e32 v26, v16, v26
	v_fma_f32 v47, v47, v27, -v90
	v_fma_f32 v18, v48, v27, -v18
	v_mul_f32_e32 v48, v81, v30
	v_mul_f32_e32 v30, v14, v30
	v_fmac_f32_e32 v91, v68, v27
	v_fmac_f32_e32 v28, v69, v27
	v_mul_f32_e32 v27, v76, v32
	v_mul_f32_e32 v32, v63, v32
	v_fma_f32 v13, v13, v25, -v88
	v_fmac_f32_e32 v89, v67, v25
	v_fma_f32 v16, v16, v25, -v21
	v_fmac_f32_e32 v26, v79, v25
	v_mul_f32_e32 v21, v78, v34
	v_mul_f32_e32 v25, v19, v34
	;; [unrolled: 1-line block ×4, first 2 shown]
	v_fma_f32 v62, v62, v31, -v86
	v_fma_f32 v27, v63, v31, -v27
	v_mul_f32_e32 v63, v80, v38
	v_mul_f32_e32 v38, v17, v38
	v_fmac_f32_e32 v23, v75, v31
	v_fmac_f32_e32 v32, v76, v31
	v_mul_f32_e32 v31, v71, v40
	v_mul_f32_e32 v40, v10, v40
	v_fma_f32 v11, v11, v29, -v93
	v_fmac_f32_e32 v94, v72, v29
	v_fma_f32 v14, v14, v29, -v48
	v_fmac_f32_e32 v30, v81, v29
	v_mul_f32_e32 v29, v82, v42
	v_mul_f32_e32 v42, v15, v42
	;; [unrolled: 1-line block ×4, first 2 shown]
	v_fma_f32 v19, v19, v33, -v21
	v_fmac_f32_e32 v25, v78, v33
	v_fma_f32 v12, v12, v35, -v34
	v_fmac_f32_e32 v36, v66, v35
	;; [unrolled: 2-line block ×6, first 2 shown]
	v_add_f32_e32 v21, v1, v62
	v_add_f32_e32 v31, v45, v11
	;; [unrolled: 1-line block ×4, first 2 shown]
	v_sub_f32_e32 v1, v1, v62
	v_sub_f32_e32 v23, v85, v23
	;; [unrolled: 1-line block ×4, first 2 shown]
	v_add_f32_e32 v35, v13, v47
	v_add_f32_e32 v37, v89, v91
	v_sub_f32_e32 v13, v47, v13
	v_sub_f32_e32 v39, v91, v89
	v_add_f32_e32 v41, v9, v27
	v_add_f32_e32 v43, v22, v32
	v_sub_f32_e32 v9, v9, v27
	v_sub_f32_e32 v22, v22, v32
	;; [unrolled: 4-line block ×8, first 2 shown]
	v_sub_f32_e32 v21, v21, v35
	v_sub_f32_e32 v29, v29, v37
	;; [unrolled: 1-line block ×4, first 2 shown]
	v_add_f32_e32 v48, v13, v11
	v_add_f32_e32 v62, v39, v34
	v_sub_f32_e32 v63, v13, v11
	v_sub_f32_e32 v64, v39, v34
	v_sub_f32_e32 v11, v11, v1
	v_sub_f32_e32 v34, v34, v23
	v_add_f32_e32 v65, v27, v41
	v_add_f32_e32 v66, v32, v43
	v_sub_f32_e32 v67, v27, v41
	v_sub_f32_e32 v68, v32, v43
	v_sub_f32_e32 v43, v43, v45
	v_sub_f32_e32 v27, v30, v27
	v_sub_f32_e32 v32, v45, v32
	v_add_f32_e32 v69, v16, v14
	v_add_f32_e32 v71, v18, v24
	v_sub_f32_e32 v72, v16, v14
	v_sub_f32_e32 v75, v18, v24
	;; [unrolled: 1-line block ×4, first 2 shown]
	v_add_f32_e32 v76, v25, v26
	v_add_f32_e32 v77, v44, v28
	;; [unrolled: 1-line block ×4, first 2 shown]
	v_sub_f32_e32 v82, v10, v12
	v_sub_f32_e32 v83, v17, v15
	;; [unrolled: 1-line block ×4, first 2 shown]
	v_add_f32_e32 v35, v35, v38
	v_add_f32_e32 v37, v37, v40
	v_sub_f32_e32 v13, v1, v13
	v_sub_f32_e32 v39, v23, v39
	v_sub_f32_e32 v41, v41, v30
	v_add_f32_e32 v1, v48, v1
	v_add_f32_e32 v23, v62, v23
	v_mul_f32_e32 v21, 0x3f4a47b2, v21
	v_mul_f32_e32 v29, 0x3f4a47b2, v29
	;; [unrolled: 1-line block ×8, first 2 shown]
	v_add_f32_e32 v30, v30, v65
	v_add_f32_e32 v45, v45, v66
	v_sub_f32_e32 v16, v9, v16
	v_sub_f32_e32 v18, v22, v18
	;; [unrolled: 1-line block ×10, first 2 shown]
	v_add_f32_e32 v9, v69, v9
	v_add_f32_e32 v22, v71, v22
	v_mul_f32_e32 v43, 0x3f4a47b2, v43
	v_mul_f32_e32 v65, 0x3d64c772, v27
	v_mul_f32_e32 v66, 0x3d64c772, v32
	v_mul_f32_e32 v69, 0xbf08b237, v72
	v_mul_f32_e32 v71, 0xbf08b237, v75
	v_mul_f32_e32 v72, 0x3f5ff5aa, v14
	v_mul_f32_e32 v75, 0x3f5ff5aa, v24
	v_add_f32_e32 v36, v36, v76
	v_add_f32_e32 v42, v42, v77
	v_add_f32_e32 v19, v80, v19
	v_add_f32_e32 v20, v81, v20
	v_mul_f32_e32 v80, 0xbf08b237, v82
	v_mul_f32_e32 v81, 0xbf08b237, v83
	;; [unrolled: 1-line block ×4, first 2 shown]
	v_add_f32_e32 v2, v2, v35
	v_add_f32_e32 v73, v73, v37
	v_fmamk_f32 v31, v31, 0x3d64c772, v21
	v_fmamk_f32 v33, v33, 0x3d64c772, v29
	v_fma_f32 v38, 0x3f3bfb3b, v46, -v38
	v_fma_f32 v40, 0x3f3bfb3b, v47, -v40
	;; [unrolled: 1-line block ×4, first 2 shown]
	v_fmamk_f32 v46, v13, 0x3eae86e6, v48
	v_fmamk_f32 v47, v39, 0x3eae86e6, v62
	v_fma_f32 v11, 0x3f5ff5aa, v11, -v48
	v_fma_f32 v34, 0x3f5ff5aa, v34, -v62
	;; [unrolled: 1-line block ×4, first 2 shown]
	v_add_f32_e32 v3, v3, v30
	v_add_f32_e32 v48, v74, v45
	v_mul_f32_e32 v41, 0x3f4a47b2, v41
	v_mul_f32_e32 v26, 0x3f4a47b2, v26
	;; [unrolled: 1-line block ×4, first 2 shown]
	v_fmamk_f32 v32, v32, 0x3d64c772, v43
	v_fma_f32 v62, 0x3f3bfb3b, v67, -v65
	v_fma_f32 v63, 0x3f3bfb3b, v68, -v66
	;; [unrolled: 1-line block ×3, first 2 shown]
	v_fmamk_f32 v64, v16, 0x3eae86e6, v69
	v_fmamk_f32 v65, v18, 0x3eae86e6, v71
	v_fma_f32 v14, 0x3f5ff5aa, v14, -v69
	v_fma_f32 v24, 0x3f5ff5aa, v24, -v71
	;; [unrolled: 1-line block ×4, first 2 shown]
	v_add_f32_e32 v0, v0, v36
	v_add_f32_e32 v8, v8, v42
	v_fmamk_f32 v68, v10, 0x3eae86e6, v80
	v_fmamk_f32 v69, v17, 0x3eae86e6, v81
	v_fma_f32 v12, 0x3f5ff5aa, v12, -v80
	v_fma_f32 v71, 0xbeae86e6, v10, -v82
	v_fma_f32 v10, 0xbeae86e6, v17, -v83
	v_fmamk_f32 v17, v35, 0xbf955555, v2
	v_mul_f32_e32 v76, 0x3d64c772, v25
	v_fmamk_f32 v35, v37, 0xbf955555, v73
	v_fma_f32 v15, 0x3f5ff5aa, v15, -v81
	v_fmac_f32_e32 v46, 0x3ee1c552, v1
	v_fmac_f32_e32 v47, 0x3ee1c552, v23
	;; [unrolled: 1-line block ×6, first 2 shown]
	v_fmamk_f32 v1, v30, 0xbf955555, v3
	v_fmamk_f32 v23, v45, 0xbf955555, v48
	;; [unrolled: 1-line block ×3, first 2 shown]
	v_fma_f32 v41, 0xbf3bfb3b, v67, -v41
	v_fmamk_f32 v25, v25, 0x3d64c772, v26
	v_fmamk_f32 v44, v44, 0x3d64c772, v28
	v_fma_f32 v67, 0x3f3bfb3b, v79, -v77
	v_fma_f32 v28, 0xbf3bfb3b, v79, -v28
	v_fmac_f32_e32 v64, 0x3ee1c552, v9
	v_fmac_f32_e32 v65, 0x3ee1c552, v22
	;; [unrolled: 1-line block ×6, first 2 shown]
	v_fmamk_f32 v9, v36, 0xbf955555, v0
	v_fmamk_f32 v22, v42, 0xbf955555, v8
	v_fmac_f32_e32 v68, 0x3ee1c552, v19
	v_fmac_f32_e32 v12, 0x3ee1c552, v19
	v_fmac_f32_e32 v71, 0x3ee1c552, v19
	v_add_f32_e32 v19, v31, v17
	v_fma_f32 v66, 0x3f3bfb3b, v78, -v76
	v_fma_f32 v26, 0xbf3bfb3b, v78, -v26
	v_add_f32_e32 v30, v38, v17
	v_add_f32_e32 v17, v21, v17
	;; [unrolled: 1-line block ×3, first 2 shown]
	v_fmac_f32_e32 v69, 0x3ee1c552, v20
	v_fmac_f32_e32 v15, 0x3ee1c552, v20
	;; [unrolled: 1-line block ×3, first 2 shown]
	v_add_f32_e32 v20, v33, v35
	v_add_f32_e32 v21, v29, v35
	;; [unrolled: 1-line block ×16, first 2 shown]
	v_sub_f32_e32 v28, v30, v34
	v_add_f32_e32 v42, v11, v31
	v_add_f32_e32 v30, v34, v30
	v_sub_f32_e32 v34, v31, v11
	v_sub_f32_e32 v11, v17, v39
	;; [unrolled: 1-line block ×4, first 2 shown]
	v_add_f32_e32 v39, v13, v21
	v_sub_f32_e32 v13, v19, v47
	v_add_f32_e32 v43, v46, v20
	v_sub_f32_e32 v20, v32, v24
	v_add_f32_e32 v21, v24, v32
	v_lshl_add_u32 v31, v70, 2, 0
	v_add_f32_e32 v17, v65, v27
	v_add_f32_e32 v19, v18, v1
	;; [unrolled: 1-line block ×3, first 2 shown]
	v_sub_f32_e32 v32, v33, v14
	v_sub_f32_e32 v1, v1, v18
	;; [unrolled: 1-line block ×4, first 2 shown]
	v_add_f32_e32 v33, v16, v23
	v_add_f32_e32 v16, v69, v25
	ds_write2_b32 v50, v2, v22 offset1:91
	ds_write2_b32 v52, v26, v28 offset0:54 offset1:145
	ds_write2_b32 v57, v30, v11 offset0:108 offset1:199
	ds_write2_b32 v53, v13, v3 offset0:34 offset1:125
	ds_write2_b32 v54, v17, v19 offset0:88 offset1:179
	v_add_nc_u32_e32 v2, 0x1200, v49
	v_add_f32_e32 v18, v10, v9
	v_sub_f32_e32 v23, v36, v15
	v_add_nc_u32_e32 v3, 0x1600, v49
	v_sub_f32_e32 v44, v29, v64
	v_add_f32_e32 v47, v64, v29
	v_add_f32_e32 v64, v12, v37
	;; [unrolled: 1-line block ×3, first 2 shown]
	v_sub_f32_e32 v36, v37, v12
	v_sub_f32_e32 v9, v9, v10
	v_add_nc_u32_e32 v37, 0x1800, v49
	v_sub_f32_e32 v10, v25, v69
	ds_write2_b32 v56, v20, v21 offset0:142 offset1:233
	ds_write2_b32 v55, v1, v14 offset0:68 offset1:159
	ds_write2_b32 v2, v0, v16 offset0:122 offset1:213
	ds_write2_b32 v3, v18, v23 offset0:48 offset1:139
	ds_write2_b32 v37, v15, v9 offset0:102 offset1:193
	ds_write_b32 v49, v10 offset:7280
	v_add_nc_u32_e32 v0, 0x400, v31
	s_waitcnt lgkmcnt(0)
	s_barrier
	buffer_gl0_inv
	ds_read2_b32 v[10:11], v50 offset1:91
	ds_read2_b32 v[22:23], v53 offset0:34 offset1:125
	ds_read2_b32 v[14:15], v59 offset0:122 offset1:213
	;; [unrolled: 1-line block ×9, first 2 shown]
	ds_read_b32 v30, v50 offset:7280
	v_sub_f32_e32 v62, v35, v68
	v_sub_f32_e32 v63, v38, v71
	v_add_f32_e32 v0, v71, v38
	v_add_f32_e32 v1, v68, v35
	s_waitcnt lgkmcnt(0)
	s_barrier
	buffer_gl0_inv
	ds_write2_b32 v50, v73, v40 offset1:91
	ds_write2_b32 v52, v41, v42 offset0:54 offset1:145
	ds_write2_b32 v57, v34, v39 offset0:108 offset1:199
	;; [unrolled: 1-line block ×9, first 2 shown]
	ds_write_b32 v49, v1 offset:7280
	s_waitcnt lgkmcnt(0)
	s_barrier
	buffer_gl0_inv
	s_and_saveexec_b32 s0, vcc_lo
	s_cbranch_execz .LBB0_21
; %bb.20:
	v_lshlrev_b32_e32 v0, 1, v70
	v_mov_b32_e32 v9, 0
	ds_read_b32 v78, v50 offset:7280
	v_mul_lo_u32 v77, s2, v7
	v_mad_u64_u32 v[48:49], null, s2, v6, 0
	v_add_nc_u32_e32 v8, 0x444, v0
	v_add_nc_u32_e32 v60, 0x800, v50
	;; [unrolled: 1-line block ×5, first 2 shown]
	v_lshlrev_b64 v[1:2], 3, v[8:9]
	v_add_nc_u32_e32 v73, 0x200, v50
	v_add_nc_u32_e32 v75, 0xa00, v50
	;; [unrolled: 1-line block ×5, first 2 shown]
	v_add_co_u32 v3, vcc_lo, s12, v1
	v_mov_b32_e32 v1, v9
	v_add_co_ci_u32_e32 v8, vcc_lo, s13, v2, vcc_lo
	v_add_co_u32 v2, vcc_lo, 0x1000, v3
	v_lshlrev_b64 v[36:37], 3, v[0:1]
	v_add_co_ci_u32_e32 v3, vcc_lo, 0, v8, vcc_lo
	v_add_nc_u32_e32 v8, 0x38e, v0
	v_add_nc_u32_e32 v81, 0xb6, v70
	;; [unrolled: 1-line block ×3, first 2 shown]
	v_add_co_u32 v1, vcc_lo, s12, v36
	global_load_dwordx4 v[32:35], v[2:3], off offset:896
	v_add_co_ci_u32_e32 v2, vcc_lo, s13, v37, vcc_lo
	v_add_co_u32 v1, vcc_lo, 0x1000, v1
	v_mul_hi_u32 v86, 0x9b876f53, v81
	v_add_co_ci_u32_e32 v2, vcc_lo, 0, v2, vcc_lo
	v_mul_hi_u32 v79, 0x9b876f53, v70
	v_add_nc_u32_e32 v83, 0x16c, v70
	v_add_nc_u32_e32 v84, 0x1c7, v70
	global_load_dwordx4 v[36:39], v[1:2], off offset:896
	v_lshlrev_b64 v[1:2], 3, v[8:9]
	v_add_nc_u32_e32 v8, 0x2d8, v0
	v_lshlrev_b64 v[4:5], 3, v[4:5]
	v_add_nc_u32_e32 v85, 0x222, v70
	v_add_co_u32 v1, vcc_lo, s12, v1
	v_add_co_ci_u32_e32 v2, vcc_lo, s13, v2, vcc_lo
	v_mul_hi_u32 v92, 0x9b876f53, v85
	v_add_co_u32 v1, vcc_lo, 0x1000, v1
	v_add_co_ci_u32_e32 v2, vcc_lo, 0, v2, vcc_lo
	global_load_dwordx4 v[40:43], v[1:2], off offset:896
	v_lshlrev_b64 v[1:2], 3, v[8:9]
	v_add_nc_u32_e32 v8, 0x222, v0
	v_add_co_u32 v1, vcc_lo, s12, v1
	v_add_co_ci_u32_e32 v2, vcc_lo, s13, v2, vcc_lo
	v_add_co_u32 v1, vcc_lo, 0x1000, v1
	v_add_co_ci_u32_e32 v2, vcc_lo, 0, v2, vcc_lo
	global_load_dwordx4 v[44:47], v[1:2], off offset:896
	v_lshlrev_b64 v[0:1], 3, v[8:9]
	v_lshlrev_b32_e32 v8, 1, v61
	v_add_co_u32 v0, vcc_lo, s12, v0
	v_add_co_ci_u32_e32 v1, vcc_lo, s13, v1, vcc_lo
	v_add_co_u32 v0, vcc_lo, 0x1000, v0
	v_add_co_ci_u32_e32 v1, vcc_lo, 0, v1, vcc_lo
	global_load_dwordx4 v[52:55], v[0:1], off offset:896
	v_lshlrev_b64 v[0:1], 3, v[8:9]
	v_lshlrev_b32_e32 v8, 1, v51
	v_add_nc_u32_e32 v51, 0x1000, v50
	v_add_co_u32 v0, vcc_lo, s12, v0
	v_add_co_ci_u32_e32 v1, vcc_lo, s13, v1, vcc_lo
	v_add_co_u32 v0, vcc_lo, 0x1000, v0
	v_add_co_ci_u32_e32 v1, vcc_lo, 0, v1, vcc_lo
	global_load_dwordx4 v[56:59], v[0:1], off offset:896
	v_lshlrev_b64 v[0:1], 3, v[8:9]
	v_mul_lo_u32 v8, s3, v6
	ds_read2_b32 v[6:7], v50 offset1:91
	ds_read2_b32 v[50:51], v51 offset0:68 offset1:159
	v_add_co_u32 v0, vcc_lo, s12, v0
	v_add_co_ci_u32_e32 v1, vcc_lo, s13, v1, vcc_lo
	v_add3_u32 v49, v49, v77, v8
	v_add_co_u32 v0, vcc_lo, 0x1000, v0
	v_add_co_ci_u32_e32 v1, vcc_lo, 0, v1, vcc_lo
	global_load_dwordx4 v[0:3], v[0:1], off offset:896
	ds_read2_b32 v[60:61], v60 offset0:34 offset1:125
	ds_read2_b32 v[62:63], v62 offset0:102 offset1:193
	;; [unrolled: 1-line block ×4, first 2 shown]
	v_mul_hi_u32 v31, 0x9b876f53, v80
	ds_read2_b32 v[68:69], v68 offset0:142 offset1:233
	ds_read2_b32 v[71:72], v71 offset0:48 offset1:139
	ds_read2_b32 v[73:74], v73 offset0:54 offset1:145
	ds_read2_b32 v[75:76], v75 offset0:88 offset1:179
	v_sub_nc_u32_e32 v88, v80, v31
	s_waitcnt vmcnt(6)
	v_mul_f32_e32 v87, v30, v35
	s_waitcnt lgkmcnt(10)
	v_mul_f32_e32 v35, v78, v35
	v_mul_f32_e32 v89, v29, v33
	s_waitcnt lgkmcnt(8)
	v_mul_f32_e32 v33, v51, v33
	v_fmac_f32_e32 v87, v78, v34
	v_fma_f32 v78, v30, v34, -v35
	v_lshrrev_b32_e32 v30, 1, v88
	v_fmac_f32_e32 v89, v51, v32
	v_fma_f32 v51, v29, v32, -v33
	v_sub_nc_u32_e32 v34, v81, v86
	s_waitcnt vmcnt(5) lgkmcnt(7)
	v_mul_f32_e32 v29, v61, v37
	v_add_nc_u32_e32 v31, v30, v31
	v_mul_f32_e32 v88, v23, v37
	s_waitcnt lgkmcnt(5)
	v_mul_f32_e32 v32, v64, v39
	v_mul_f32_e32 v90, v14, v39
	v_fma_f32 v91, v23, v36, -v29
	v_mul_hi_u32 v23, 0x9b876f53, v82
	v_lshrrev_b32_e32 v29, 9, v31
	v_lshrrev_b32_e32 v31, 1, v34
	v_fma_f32 v14, v14, v38, -v32
	v_sub_nc_u32_e32 v32, v70, v79
	v_mul_hi_u32 v33, 0x9b876f53, v83
	v_mul_u32_u24_e32 v8, 0x27d, v29
	v_add_nc_u32_e32 v31, v31, v86
	v_sub_nc_u32_e32 v34, v82, v23
	v_mul_hi_u32 v35, 0x9b876f53, v84
	v_fmac_f32_e32 v88, v36, v61
	v_lshrrev_b32_e32 v36, 1, v32
	v_lshrrev_b32_e32 v37, 9, v31
	v_lshlrev_b64 v[31:32], 3, v[48:49]
	v_sub_nc_u32_e32 v8, v80, v8
	v_lshrrev_b32_e32 v34, 1, v34
	v_fmac_f32_e32 v90, v38, v64
	v_sub_nc_u32_e32 v38, v83, v33
	v_sub_nc_u32_e32 v49, v84, v35
	v_mad_u32_u24 v8, 0x777, v29, v8
	v_mul_u32_u24_e32 v29, 0x27d, v37
	v_add_co_u32 v39, vcc_lo, s10, v31
	v_add_nc_u32_e32 v23, v34, v23
	v_add_co_ci_u32_e32 v48, vcc_lo, s11, v32, vcc_lo
	v_lshrrev_b32_e32 v38, 1, v38
	v_sub_nc_u32_e32 v34, v81, v29
	v_lshlrev_b64 v[31:32], 3, v[8:9]
	v_add_nc_u32_e32 v29, 0x27d, v8
	v_add_nc_u32_e32 v8, 0x4fa, v8
	v_add_co_u32 v64, vcc_lo, v39, v4
	v_lshrrev_b32_e32 v39, 1, v49
	v_lshrrev_b32_e32 v23, 9, v23
	v_mov_b32_e32 v30, v9
	v_add_co_ci_u32_e32 v80, vcc_lo, v48, v5, vcc_lo
	v_lshlrev_b64 v[4:5], 3, v[8:9]
	v_mad_u32_u24 v8, 0x777, v37, v34
	v_add_nc_u32_e32 v36, v36, v79
	s_waitcnt vmcnt(4)
	v_mul_f32_e32 v37, v50, v41
	v_add_nc_u32_e32 v48, v38, v33
	v_mul_f32_e32 v61, v28, v41
	v_add_nc_u32_e32 v39, v39, v35
	v_mul_u32_u24_e32 v33, 0x27d, v23
	v_mul_f32_e32 v35, v63, v43
	v_fma_f32 v77, v28, v40, -v37
	v_fmac_f32_e32 v61, v40, v50
	v_lshrrev_b32_e32 v40, 9, v36
	v_sub_nc_u32_e32 v41, v82, v33
	v_lshlrev_b64 v[29:30], 3, v[29:30]
	v_fma_f32 v81, v27, v42, -v35
	v_lshlrev_b64 v[35:36], 3, v[8:9]
	v_add_nc_u32_e32 v33, 0x27d, v8
	v_add_nc_u32_e32 v8, 0x4fa, v8
	v_add_co_u32 v31, vcc_lo, v64, v31
	v_mov_b32_e32 v34, v9
	v_add_co_ci_u32_e32 v32, vcc_lo, v80, v32, vcc_lo
	v_mul_f32_e32 v79, v27, v43
	v_lshlrev_b64 v[37:38], 3, v[8:9]
	v_mad_u32_u24 v8, 0x777, v23, v41
	s_waitcnt vmcnt(3)
	v_mul_f32_e32 v27, v62, v47
	v_mul_u32_u24_e32 v40, 0x27d, v40
	v_lshrrev_b32_e32 v41, 9, v48
	v_add_co_u32 v29, vcc_lo, v64, v29
	v_add_co_ci_u32_e32 v30, vcc_lo, v80, v30, vcc_lo
	v_add_co_u32 v4, vcc_lo, v64, v4
	v_lshlrev_b64 v[33:34], 3, v[33:34]
	v_fma_f32 v82, v26, v46, -v27
	v_mul_f32_e32 v86, v26, v47
	v_lshrrev_b32_e32 v93, 9, v39
	v_sub_nc_u32_e32 v26, v70, v40
	v_mul_u32_u24_e32 v27, 0x27d, v41
	s_waitcnt lgkmcnt(3)
	v_mul_f32_e32 v39, v69, v45
	v_add_co_ci_u32_e32 v5, vcc_lo, v80, v5, vcc_lo
	v_add_co_u32 v35, vcc_lo, v64, v35
	v_add_co_ci_u32_e32 v36, vcc_lo, v80, v36, vcc_lo
	v_fmac_f32_e32 v79, v42, v63
	v_mul_f32_e32 v70, v25, v45
	v_lshlrev_b32_e32 v42, 3, v26
	v_sub_nc_u32_e32 v43, v83, v27
	v_fma_f32 v83, v25, v44, -v39
	v_lshlrev_b64 v[25:26], 3, v[8:9]
	v_add_co_u32 v33, vcc_lo, v64, v33
	s_waitcnt vmcnt(2) lgkmcnt(2)
	v_mul_f32_e32 v45, v72, v55
	v_add_co_ci_u32_e32 v34, vcc_lo, v80, v34, vcc_lo
	v_add_co_u32 v37, vcc_lo, v64, v37
	v_add_nc_u32_e32 v27, 0x27d, v8
	v_add_nc_u32_e32 v8, 0x4fa, v8
	v_add_co_ci_u32_e32 v38, vcc_lo, v80, v38, vcc_lo
	v_fma_f32 v95, v19, v54, -v45
	v_add_f32_e32 v45, v51, v78
	v_mov_b32_e32 v28, v9
	v_add_co_u32 v25, vcc_lo, v64, v25
	v_add_co_ci_u32_e32 v26, vcc_lo, v80, v26, vcc_lo
	v_lshlrev_b64 v[39:40], 3, v[8:9]
	v_mad_u32_u24 v8, 0x777, v41, v43
	v_mul_f32_e32 v43, v68, v53
	v_add_co_u32 v41, vcc_lo, v64, v42
	v_mul_f32_e32 v94, v24, v53
	v_mul_f32_e32 v55, v19, v55
	v_add_f32_e32 v19, v89, v87
	v_add_f32_e32 v53, v22, v51
	v_fma_f32 v45, -0.5, v45, v22
	v_add_f32_e32 v22, v88, v6
	v_add_f32_e32 v47, v10, v91
	v_add_co_ci_u32_e32 v42, vcc_lo, 0, v80, vcc_lo
	v_lshlrev_b64 v[27:28], 3, v[27:28]
	v_fma_f32 v24, v24, v52, -v43
	v_add_co_u32 v43, vcc_lo, 0x1000, v41
	v_fmac_f32_e32 v86, v46, v62
	v_fmac_f32_e32 v94, v52, v68
	v_add_f32_e32 v52, v60, v89
	v_fma_f32 v46, -0.5, v19, v60
	v_add_f32_e32 v60, v91, v14
	v_add_f32_e32 v48, v90, v22
	;; [unrolled: 1-line block ×3, first 2 shown]
	v_fmac_f32_e32 v70, v44, v69
	v_add_co_ci_u32_e32 v44, vcc_lo, 0, v42, vcc_lo
	v_add_co_u32 v27, vcc_lo, v64, v27
	v_add_co_ci_u32_e32 v28, vcc_lo, v80, v28, vcc_lo
	v_fmac_f32_e32 v55, v54, v72
	v_sub_f32_e32 v19, v91, v14
	v_add_f32_e32 v54, v88, v90
	v_add_co_u32 v49, vcc_lo, 0x2000, v41
	v_sub_f32_e32 v14, v51, v78
	v_sub_f32_e32 v22, v89, v87
	v_add_f32_e32 v52, v52, v87
	v_add_f32_e32 v51, v53, v78
	;; [unrolled: 1-line block ×3, first 2 shown]
	global_store_dwordx2 v[41:42], v[47:48], off
	v_add_f32_e32 v62, v77, v81
	v_sub_f32_e32 v87, v61, v79
	v_add_f32_e32 v61, v61, v67
	v_fma_f32 v41, -0.5, v60, v10
	v_add_f32_e32 v10, v83, v82
	v_sub_f32_e32 v68, v88, v90
	v_add_co_ci_u32_e32 v50, vcc_lo, 0, v42, vcc_lo
	v_add_f32_e32 v63, v21, v77
	v_fma_f32 v42, -0.5, v54, v6
	v_fmamk_f32 v48, v14, 0xbf5db3d7, v46
	v_fmac_f32_e32 v46, 0x3f5db3d7, v14
	v_fma_f32 v54, -0.5, v53, v67
	v_fma_f32 v53, -0.5, v62, v21
	v_add_f32_e32 v6, v70, v86
	v_add_f32_e32 v61, v79, v61
	;; [unrolled: 1-line block ×3, first 2 shown]
	v_fma_f32 v62, -0.5, v10, v20
	v_sub_f32_e32 v10, v70, v86
	v_add_f32_e32 v21, v20, v83
	s_waitcnt vmcnt(1) lgkmcnt(0)
	v_mul_f32_e32 v70, v76, v57
	v_mul_f32_e32 v79, v71, v59
	;; [unrolled: 1-line block ×3, first 2 shown]
	v_sub_f32_e32 v72, v77, v81
	v_add_f32_e32 v60, v63, v81
	v_fma_f32 v63, -0.5, v6, v66
	v_sub_f32_e32 v6, v83, v82
	v_fmamk_f32 v20, v19, 0x3f5db3d7, v42
	v_fmac_f32_e32 v42, 0xbf5db3d7, v19
	v_fmamk_f32 v19, v68, 0xbf5db3d7, v41
	v_fmac_f32_e32 v41, 0x3f5db3d7, v68
	v_add_f32_e32 v68, v21, v82
	v_mul_f32_e32 v21, v18, v59
	v_fma_f32 v59, v18, v58, -v79
	v_fma_f32 v70, v17, v56, -v70
	v_fmac_f32_e32 v57, v56, v76
	s_waitcnt vmcnt(0)
	v_mul_f32_e32 v56, v75, v1
	v_mul_f32_e32 v76, v65, v3
	;; [unrolled: 1-line block ×4, first 2 shown]
	global_store_dwordx2 v[43:44], v[41:42], off offset:1000
	global_store_dwordx2 v[49:50], v[19:20], off offset:2000
	v_fmamk_f32 v18, v6, 0x3f5db3d7, v63
	v_fmac_f32_e32 v63, 0xbf5db3d7, v6
	v_add_f32_e32 v6, v70, v59
	v_fma_f32 v42, v16, v0, -v56
	v_fma_f32 v43, v15, v2, -v76
	v_fmac_f32_e32 v81, v0, v75
	v_fmac_f32_e32 v82, v2, v65
	;; [unrolled: 1-line block ×3, first 2 shown]
	v_add_f32_e32 v41, v12, v70
	v_fmamk_f32 v17, v10, 0xbf5db3d7, v62
	v_fmac_f32_e32 v62, 0x3f5db3d7, v10
	v_add_f32_e32 v10, v57, v73
	v_fma_f32 v2, -0.5, v6, v12
	v_add_f32_e32 v6, v81, v82
	v_add_f32_e32 v12, v42, v43
	v_fmamk_f32 v78, v72, 0x3f5db3d7, v54
	v_fmac_f32_e32 v54, 0xbf5db3d7, v72
	v_sub_f32_e32 v72, v24, v95
	v_add_f32_e32 v58, v24, v95
	v_add_f32_e32 v24, v13, v24
	;; [unrolled: 1-line block ×8, first 2 shown]
	v_sub_f32_e32 v49, v57, v21
	v_add_f32_e32 v16, v21, v10
	v_sub_f32_e32 v10, v42, v43
	v_sub_f32_e32 v21, v81, v82
	v_fma_f32 v7, -0.5, v6, v7
	v_fma_f32 v6, -0.5, v12, v11
	v_add_f32_e32 v19, v24, v95
	v_sub_f32_e32 v24, v70, v59
	v_fma_f32 v3, -0.5, v3, v73
	v_sub_f32_e32 v71, v94, v55
	v_add_f32_e32 v79, v94, v74
	v_fma_f32 v14, -0.5, v14, v74
	v_fma_f32 v13, -0.5, v58, v13
	v_add_f32_e32 v42, v82, v41
	v_add_f32_e32 v41, v44, v43
	v_fmamk_f32 v44, v10, 0x3f5db3d7, v7
	v_fmamk_f32 v43, v21, 0xbf5db3d7, v6
	v_fmac_f32_e32 v7, 0xbf5db3d7, v10
	v_fmac_f32_e32 v6, 0x3f5db3d7, v21
	v_mov_b32_e32 v23, v9
	v_fmamk_f32 v47, v22, 0x3f5db3d7, v45
	v_fmac_f32_e32 v45, 0xbf5db3d7, v22
	v_add_nc_u32_e32 v22, 0x27d, v8
	v_fmamk_f32 v11, v24, 0x3f5db3d7, v3
	v_fmamk_f32 v10, v49, 0xbf5db3d7, v2
	v_fmac_f32_e32 v3, 0xbf5db3d7, v24
	v_fmac_f32_e32 v2, 0x3f5db3d7, v49
	v_add_f32_e32 v20, v55, v79
	v_fmamk_f32 v1, v72, 0x3f5db3d7, v14
	v_fmamk_f32 v0, v71, 0xbf5db3d7, v13
	v_fmac_f32_e32 v14, 0xbf5db3d7, v72
	v_fmac_f32_e32 v13, 0x3f5db3d7, v71
	global_store_dwordx2 v[31:32], v[41:42], off
	global_store_dwordx2 v[29:30], v[6:7], off
	;; [unrolled: 1-line block ×8, first 2 shown]
	v_mul_u32_u24_e32 v10, 0x27d, v93
	v_sub_nc_u32_e32 v11, v85, v92
	v_lshlrev_b64 v[66:67], 3, v[8:9]
	v_add_co_u32 v2, vcc_lo, v64, v39
	v_lshlrev_b64 v[4:5], 3, v[22:23]
	v_add_nc_u32_e32 v8, 0x4fa, v8
	v_sub_nc_u32_e32 v12, v84, v10
	v_lshrrev_b32_e32 v13, 1, v11
	v_add_co_ci_u32_e32 v3, vcc_lo, v80, v40, vcc_lo
	v_add_co_u32 v6, vcc_lo, v64, v66
	v_add_co_ci_u32_e32 v7, vcc_lo, v80, v67, vcc_lo
	v_add_co_u32 v4, vcc_lo, v64, v4
	v_lshlrev_b64 v[10:11], 3, v[8:9]
	v_mad_u32_u24 v8, 0x777, v93, v12
	v_add_nc_u32_e32 v12, v13, v92
	v_add_co_ci_u32_e32 v5, vcc_lo, v80, v5, vcc_lo
	global_store_dwordx2 v[2:3], v[0:1], off
	global_store_dwordx2 v[6:7], v[68:69], off
	;; [unrolled: 1-line block ×3, first 2 shown]
	v_lshrrev_b32_e32 v6, 9, v12
	v_lshlrev_b64 v[0:1], 3, v[8:9]
	v_add_co_u32 v2, vcc_lo, v64, v10
	v_add_co_ci_u32_e32 v3, vcc_lo, v80, v11, vcc_lo
	v_mul_u32_u24_e32 v7, 0x27d, v6
	v_add_nc_u32_e32 v4, 0x27d, v8
	v_mov_b32_e32 v5, v9
	v_add_co_u32 v0, vcc_lo, v64, v0
	v_add_nc_u32_e32 v8, 0x4fa, v8
	v_sub_nc_u32_e32 v7, v85, v7
	v_add_co_ci_u32_e32 v1, vcc_lo, v80, v1, vcc_lo
	v_lshlrev_b64 v[4:5], 3, v[4:5]
	global_store_dwordx2 v[2:3], v[17:18], off
	global_store_dwordx2 v[0:1], v[60:61], off
	v_lshlrev_b64 v[0:1], 3, v[8:9]
	v_mad_u32_u24 v8, 0x777, v6, v7
	v_mov_b32_e32 v7, v9
	v_add_co_u32 v2, vcc_lo, v64, v4
	v_add_co_ci_u32_e32 v3, vcc_lo, v80, v5, vcc_lo
	v_add_nc_u32_e32 v6, 0x27d, v8
	v_lshlrev_b64 v[4:5], 3, v[8:9]
	v_add_nc_u32_e32 v8, 0x4fa, v8
	v_add_co_u32 v0, vcc_lo, v64, v0
	v_lshlrev_b64 v[6:7], 3, v[6:7]
	v_add_co_ci_u32_e32 v1, vcc_lo, v80, v1, vcc_lo
	v_add_co_u32 v4, vcc_lo, v64, v4
	v_lshlrev_b64 v[8:9], 3, v[8:9]
	v_add_co_ci_u32_e32 v5, vcc_lo, v80, v5, vcc_lo
	v_add_co_u32 v6, vcc_lo, v64, v6
	v_fmamk_f32 v77, v87, 0xbf5db3d7, v53
	v_fmac_f32_e32 v53, 0x3f5db3d7, v87
	v_add_co_ci_u32_e32 v7, vcc_lo, v80, v7, vcc_lo
	v_add_co_u32 v8, vcc_lo, v64, v8
	v_add_co_ci_u32_e32 v9, vcc_lo, v80, v9, vcc_lo
	global_store_dwordx2 v[2:3], v[53:54], off
	global_store_dwordx2 v[0:1], v[77:78], off
	;; [unrolled: 1-line block ×5, first 2 shown]
.LBB0_21:
	s_endpgm
	.section	.rodata,"a",@progbits
	.p2align	6, 0x0
	.amdhsa_kernel fft_rtc_fwd_len1911_factors_13_7_7_3_wgs_91_tpt_91_halfLds_sp_op_CI_CI_unitstride_sbrr_dirReg
		.amdhsa_group_segment_fixed_size 0
		.amdhsa_private_segment_fixed_size 0
		.amdhsa_kernarg_size 104
		.amdhsa_user_sgpr_count 6
		.amdhsa_user_sgpr_private_segment_buffer 1
		.amdhsa_user_sgpr_dispatch_ptr 0
		.amdhsa_user_sgpr_queue_ptr 0
		.amdhsa_user_sgpr_kernarg_segment_ptr 1
		.amdhsa_user_sgpr_dispatch_id 0
		.amdhsa_user_sgpr_flat_scratch_init 0
		.amdhsa_user_sgpr_private_segment_size 0
		.amdhsa_wavefront_size32 1
		.amdhsa_uses_dynamic_stack 0
		.amdhsa_system_sgpr_private_segment_wavefront_offset 0
		.amdhsa_system_sgpr_workgroup_id_x 1
		.amdhsa_system_sgpr_workgroup_id_y 0
		.amdhsa_system_sgpr_workgroup_id_z 0
		.amdhsa_system_sgpr_workgroup_info 0
		.amdhsa_system_vgpr_workitem_id 0
		.amdhsa_next_free_vgpr 96
		.amdhsa_next_free_sgpr 27
		.amdhsa_reserve_vcc 1
		.amdhsa_reserve_flat_scratch 0
		.amdhsa_float_round_mode_32 0
		.amdhsa_float_round_mode_16_64 0
		.amdhsa_float_denorm_mode_32 3
		.amdhsa_float_denorm_mode_16_64 3
		.amdhsa_dx10_clamp 1
		.amdhsa_ieee_mode 1
		.amdhsa_fp16_overflow 0
		.amdhsa_workgroup_processor_mode 1
		.amdhsa_memory_ordered 1
		.amdhsa_forward_progress 0
		.amdhsa_shared_vgpr_count 0
		.amdhsa_exception_fp_ieee_invalid_op 0
		.amdhsa_exception_fp_denorm_src 0
		.amdhsa_exception_fp_ieee_div_zero 0
		.amdhsa_exception_fp_ieee_overflow 0
		.amdhsa_exception_fp_ieee_underflow 0
		.amdhsa_exception_fp_ieee_inexact 0
		.amdhsa_exception_int_div_zero 0
	.end_amdhsa_kernel
	.text
.Lfunc_end0:
	.size	fft_rtc_fwd_len1911_factors_13_7_7_3_wgs_91_tpt_91_halfLds_sp_op_CI_CI_unitstride_sbrr_dirReg, .Lfunc_end0-fft_rtc_fwd_len1911_factors_13_7_7_3_wgs_91_tpt_91_halfLds_sp_op_CI_CI_unitstride_sbrr_dirReg
                                        ; -- End function
	.section	.AMDGPU.csdata,"",@progbits
; Kernel info:
; codeLenInByte = 15228
; NumSgprs: 29
; NumVgprs: 96
; ScratchSize: 0
; MemoryBound: 0
; FloatMode: 240
; IeeeMode: 1
; LDSByteSize: 0 bytes/workgroup (compile time only)
; SGPRBlocks: 3
; VGPRBlocks: 11
; NumSGPRsForWavesPerEU: 29
; NumVGPRsForWavesPerEU: 96
; Occupancy: 10
; WaveLimiterHint : 1
; COMPUTE_PGM_RSRC2:SCRATCH_EN: 0
; COMPUTE_PGM_RSRC2:USER_SGPR: 6
; COMPUTE_PGM_RSRC2:TRAP_HANDLER: 0
; COMPUTE_PGM_RSRC2:TGID_X_EN: 1
; COMPUTE_PGM_RSRC2:TGID_Y_EN: 0
; COMPUTE_PGM_RSRC2:TGID_Z_EN: 0
; COMPUTE_PGM_RSRC2:TIDIG_COMP_CNT: 0
	.text
	.p2alignl 6, 3214868480
	.fill 48, 4, 3214868480
	.type	__hip_cuid_a705be0d439907e3,@object ; @__hip_cuid_a705be0d439907e3
	.section	.bss,"aw",@nobits
	.globl	__hip_cuid_a705be0d439907e3
__hip_cuid_a705be0d439907e3:
	.byte	0                               ; 0x0
	.size	__hip_cuid_a705be0d439907e3, 1

	.ident	"AMD clang version 19.0.0git (https://github.com/RadeonOpenCompute/llvm-project roc-6.4.0 25133 c7fe45cf4b819c5991fe208aaa96edf142730f1d)"
	.section	".note.GNU-stack","",@progbits
	.addrsig
	.addrsig_sym __hip_cuid_a705be0d439907e3
	.amdgpu_metadata
---
amdhsa.kernels:
  - .args:
      - .actual_access:  read_only
        .address_space:  global
        .offset:         0
        .size:           8
        .value_kind:     global_buffer
      - .offset:         8
        .size:           8
        .value_kind:     by_value
      - .actual_access:  read_only
        .address_space:  global
        .offset:         16
        .size:           8
        .value_kind:     global_buffer
      - .actual_access:  read_only
        .address_space:  global
        .offset:         24
        .size:           8
        .value_kind:     global_buffer
      - .actual_access:  read_only
        .address_space:  global
        .offset:         32
        .size:           8
        .value_kind:     global_buffer
      - .offset:         40
        .size:           8
        .value_kind:     by_value
      - .actual_access:  read_only
        .address_space:  global
        .offset:         48
        .size:           8
        .value_kind:     global_buffer
      - .actual_access:  read_only
        .address_space:  global
        .offset:         56
        .size:           8
        .value_kind:     global_buffer
      - .offset:         64
        .size:           4
        .value_kind:     by_value
      - .actual_access:  read_only
        .address_space:  global
        .offset:         72
        .size:           8
        .value_kind:     global_buffer
      - .actual_access:  read_only
        .address_space:  global
        .offset:         80
        .size:           8
        .value_kind:     global_buffer
      - .actual_access:  read_only
        .address_space:  global
        .offset:         88
        .size:           8
        .value_kind:     global_buffer
      - .actual_access:  write_only
        .address_space:  global
        .offset:         96
        .size:           8
        .value_kind:     global_buffer
    .group_segment_fixed_size: 0
    .kernarg_segment_align: 8
    .kernarg_segment_size: 104
    .language:       OpenCL C
    .language_version:
      - 2
      - 0
    .max_flat_workgroup_size: 91
    .name:           fft_rtc_fwd_len1911_factors_13_7_7_3_wgs_91_tpt_91_halfLds_sp_op_CI_CI_unitstride_sbrr_dirReg
    .private_segment_fixed_size: 0
    .sgpr_count:     29
    .sgpr_spill_count: 0
    .symbol:         fft_rtc_fwd_len1911_factors_13_7_7_3_wgs_91_tpt_91_halfLds_sp_op_CI_CI_unitstride_sbrr_dirReg.kd
    .uniform_work_group_size: 1
    .uses_dynamic_stack: false
    .vgpr_count:     96
    .vgpr_spill_count: 0
    .wavefront_size: 32
    .workgroup_processor_mode: 1
amdhsa.target:   amdgcn-amd-amdhsa--gfx1030
amdhsa.version:
  - 1
  - 2
...

	.end_amdgpu_metadata
